;; amdgpu-corpus repo=pytorch/pytorch kind=compiled arch=gfx90a opt=O3
	.text
	.amdgcn_target "amdgcn-amd-amdhsa--gfx90a"
	.amdhsa_code_object_version 6
	.p2align	2                               ; -- Begin function _ZN2at6native25elementwise_kernel_helperILb0EZZZNS0_12_GLOBAL__N_130modified_bessel_i0_kernel_cudaERNS_18TensorIteratorBaseEENKUlvE_clEvENKUlvE_clEvEUldE_NS0_6memory8policies11unroll_baseILi256ESt5arrayIPcLm2EE23TrivialOffsetCalculatorILi1EjESF_NS8_15LoadWithoutCastENS8_16StoreWithoutCastELi4ELi1EEEEEvT0_T1_
	.type	_ZN2at6native25elementwise_kernel_helperILb0EZZZNS0_12_GLOBAL__N_130modified_bessel_i0_kernel_cudaERNS_18TensorIteratorBaseEENKUlvE_clEvENKUlvE_clEvEUldE_NS0_6memory8policies11unroll_baseILi256ESt5arrayIPcLm2EE23TrivialOffsetCalculatorILi1EjESF_NS8_15LoadWithoutCastENS8_16StoreWithoutCastELi4ELi1EEEEEvT0_T1_,@function
_ZN2at6native25elementwise_kernel_helperILb0EZZZNS0_12_GLOBAL__N_130modified_bessel_i0_kernel_cudaERNS_18TensorIteratorBaseEENKUlvE_clEvENKUlvE_clEvEUldE_NS0_6memory8policies11unroll_baseILi256ESt5arrayIPcLm2EE23TrivialOffsetCalculatorILi1EjESF_NS8_15LoadWithoutCastENS8_16StoreWithoutCastELi4ELi1EEEEEvT0_T1_: ; @_ZN2at6native25elementwise_kernel_helperILb0EZZZNS0_12_GLOBAL__N_130modified_bessel_i0_kernel_cudaERNS_18TensorIteratorBaseEENKUlvE_clEvENKUlvE_clEvEUldE_NS0_6memory8policies11unroll_baseILi256ESt5arrayIPcLm2EE23TrivialOffsetCalculatorILi1EjESF_NS8_15LoadWithoutCastENS8_16StoreWithoutCastELi4ELi1EEEEEvT0_T1_
; %bb.0:
	s_waitcnt vmcnt(0) expcnt(0) lgkmcnt(0)
	v_and_b32_e32 v5, 0x3ff, v31
	s_lshl_b32 s10, s12, 10
	v_pk_mov_b32 v[20:21], 0, 0
	v_cmp_lt_i32_e64 s[4:5], v5, v4
	v_or_b32_e32 v14, s10, v5
	v_pk_mov_b32 v[22:23], v[20:21], v[20:21] op_sel:[0,1]
	v_mov_b32_e32 v6, v5
	s_and_saveexec_b64 s[6:7], s[4:5]
	s_cbranch_execz .LBB0_2
; %bb.1:
	v_mov_b32_e32 v15, 0
	v_lshlrev_b64 v[6:7], 3, v[14:15]
	v_add_co_u32_e32 v6, vcc, v2, v6
	v_addc_co_u32_e32 v7, vcc, v3, v7, vcc
	flat_load_dwordx2 v[22:23], v[6:7]
	v_add_u32_e32 v6, 0x100, v5
.LBB0_2:
	s_or_b64 exec, exec, s[6:7]
	v_cmp_lt_i32_e32 vcc, v6, v4
	s_and_saveexec_b64 s[6:7], vcc
	s_cbranch_execz .LBB0_4
; %bb.3:
	v_add_u32_e32 v8, s10, v6
	v_mov_b32_e32 v9, 0
	v_lshlrev_b64 v[8:9], 3, v[8:9]
	v_add_co_u32_e32 v8, vcc, v2, v8
	v_addc_co_u32_e32 v9, vcc, v3, v9, vcc
	flat_load_dwordx2 v[20:21], v[8:9]
	v_add_u32_e32 v6, 0x100, v6
.LBB0_4:
	s_or_b64 exec, exec, s[6:7]
	v_pk_mov_b32 v[16:17], 0, 0
	v_cmp_lt_i32_e32 vcc, v6, v4
	v_pk_mov_b32 v[18:19], v[16:17], v[16:17] op_sel:[0,1]
	s_and_saveexec_b64 s[6:7], vcc
	s_cbranch_execnz .LBB0_7
; %bb.5:
	s_or_b64 exec, exec, s[6:7]
	v_cmp_lt_i32_e32 vcc, v6, v4
	s_and_saveexec_b64 s[6:7], vcc
	s_cbranch_execnz .LBB0_8
.LBB0_6:
	s_or_b64 exec, exec, s[6:7]
                                        ; implicit-def: $vgpr6_vgpr7_vgpr8_vgpr9_vgpr10_vgpr11_vgpr12_vgpr13
	s_and_saveexec_b64 s[6:7], s[4:5]
	s_cbranch_execnz .LBB0_9
	s_branch .LBB0_14
.LBB0_7:
	v_add_u32_e32 v8, s10, v6
	v_mov_b32_e32 v9, 0
	v_lshlrev_b64 v[8:9], 3, v[8:9]
	v_add_co_u32_e32 v8, vcc, v2, v8
	v_addc_co_u32_e32 v9, vcc, v3, v9, vcc
	flat_load_dwordx2 v[18:19], v[8:9]
	v_add_u32_e32 v6, 0x100, v6
	s_or_b64 exec, exec, s[6:7]
	v_cmp_lt_i32_e32 vcc, v6, v4
	s_and_saveexec_b64 s[6:7], vcc
	s_cbranch_execz .LBB0_6
.LBB0_8:
	v_add_u32_e32 v6, s10, v6
	v_mov_b32_e32 v7, 0
	v_lshlrev_b64 v[6:7], 3, v[6:7]
	v_add_co_u32_e32 v2, vcc, v2, v6
	v_addc_co_u32_e32 v3, vcc, v3, v7, vcc
	flat_load_dwordx2 v[16:17], v[2:3]
	s_or_b64 exec, exec, s[6:7]
                                        ; implicit-def: $vgpr6_vgpr7_vgpr8_vgpr9_vgpr10_vgpr11_vgpr12_vgpr13
	s_and_saveexec_b64 s[6:7], s[4:5]
	s_cbranch_execz .LBB0_14
.LBB0_9:
	s_mov_b32 s8, 0
	s_mov_b32 s9, 0x40200000
	s_waitcnt vmcnt(0) lgkmcnt(0)
	v_cmp_le_f64_e64 s[8:9], |v[22:23]|, s[8:9]
                                        ; implicit-def: $vgpr6_vgpr7
	s_and_saveexec_b64 s[12:13], s[8:9]
	s_xor_b64 s[8:9], exec, s[12:13]
	s_cbranch_execz .LBB0_11
; %bb.10:
	s_mov_b32 s12, 0x2134d0ef
	v_fma_f64 v[2:3], |v[22:23]|, 0.5, -2.0
	v_mov_b32_e32 v6, 0x977da589
	v_mov_b32_e32 v7, 0x3c833362
	s_mov_b32 s13, 0xbc545cb7
	v_fmac_f64_e32 v[6:7], s[12:13], v[2:3]
	v_mov_b32_e32 v8, 0x2134d0ef
	v_mov_b32_e32 v9, 0x3c545cb7
	s_mov_b32 s12, 0x721ebbb4
	v_fmac_f64_e32 v[8:9], v[2:3], v[6:7]
	s_mov_b32 s13, 0xbcb184eb
	v_add_f64 v[8:9], v[8:9], s[12:13]
	s_mov_b32 s12, 0x93f65eba
	v_fma_f64 v[6:7], v[2:3], v[8:9], -v[6:7]
	s_mov_b32 s13, 0x3cdee6d8
	v_add_f64 v[6:7], v[6:7], s[12:13]
	s_mov_b32 s12, 0xc297fbeb
	v_fma_f64 v[8:9], v[2:3], v[6:7], -v[8:9]
	;; [unrolled: 4-line block ×27, first 2 shown]
	s_mov_b32 s13, 0x3fe5a84e
	v_add_f64 v[2:3], v[2:3], s[12:13]
	s_mov_b32 s12, 0x652b82fe
	s_mov_b32 s13, 0x3ff71547
	v_mul_f64 v[8:9], |v[22:23]|, s[12:13]
	s_mov_b32 s12, 0xfefa39ef
	v_rndne_f64_e32 v[8:9], v[8:9]
	s_mov_b32 s13, 0xbfe62e42
	v_fma_f64 v[10:11], v[8:9], s[12:13], |v[22:23]|
	s_mov_b32 s12, 0x3b39803f
	s_mov_b32 s13, 0xbc7abc9e
	v_fmac_f64_e32 v[10:11], s[12:13], v[8:9]
	s_mov_b32 s12, 0x6a5dcb37
	v_mov_b32_e32 v12, 0xfca7ab0c
	v_mov_b32_e32 v13, 0x3e928af3
	s_mov_b32 s13, 0x3e5ade15
	v_fmac_f64_e32 v[12:13], s[12:13], v[10:11]
	v_mov_b32_e32 v24, 0x623fde64
	v_mov_b32_e32 v25, 0x3ec71dee
	v_fmac_f64_e32 v[24:25], v[10:11], v[12:13]
	v_mov_b32_e32 v12, 0x7c89e6b0
	v_mov_b32_e32 v13, 0x3efa0199
	;; [unrolled: 3-line block ×8, first 2 shown]
	v_fmac_f64_e32 v[12:13], v[10:11], v[24:25]
	v_fma_f64 v[12:13], v[10:11], v[12:13], 1.0
	s_mov_b32 s12, 0
	v_fma_f64 v[10:11], v[10:11], v[12:13], 1.0
	v_cvt_i32_f64_e32 v8, v[8:9]
	s_mov_b32 s13, 0x40900000
	v_ldexp_f64 v[8:9], v[10:11], v8
	v_mov_b32_e32 v10, 0x7ff00000
	v_cmp_ngt_f64_e64 vcc, |v[22:23]|, s[12:13]
	v_add_f64 v[2:3], v[2:3], -v[6:7]
	v_cndmask_b32_e32 v9, v10, v9, vcc
	v_cndmask_b32_e32 v8, 0, v8, vcc
	v_mul_f64 v[2:3], v[2:3], 0.5
	v_mul_f64 v[6:7], v[8:9], v[2:3]
                                        ; implicit-def: $vgpr22_vgpr23
.LBB0_11:
	s_andn2_saveexec_b64 s[8:9], s[8:9]
	s_cbranch_execz .LBB0_13
; %bb.12:
	s_mov_b32 s12, 0
	v_and_b32_e32 v3, 0x7fffffff, v23
	v_mov_b32_e32 v2, v22
	s_mov_b32 s13, 0x40400000
	v_div_scale_f64 v[6:7], s[14:15], v[2:3], v[2:3], s[12:13]
	v_rcp_f64_e32 v[8:9], v[6:7]
	v_div_scale_f64 v[2:3], vcc, s[12:13], v[2:3], s[12:13]
	v_mov_b32_e32 v12, 0xfca7ab0c
	v_fma_f64 v[10:11], -v[6:7], v[8:9], 1.0
	v_fmac_f64_e32 v[8:9], v[8:9], v[10:11]
	v_fma_f64 v[10:11], -v[6:7], v[8:9], 1.0
	v_fmac_f64_e32 v[8:9], v[8:9], v[10:11]
	v_mul_f64 v[10:11], v[2:3], v[8:9]
	v_fma_f64 v[2:3], -v[6:7], v[10:11], v[2:3]
	v_div_fmas_f64 v[2:3], v[2:3], v[8:9], v[10:11]
	v_div_fixup_f64 v[2:3], v[2:3], |v[22:23]|, s[12:13]
	s_mov_b32 s12, 0x54ca8b19
	v_add_f64 v[2:3], v[2:3], -2.0
	v_mov_b32_e32 v6, 0x66119130
	v_mov_b32_e32 v7, 0xbc5646da
	s_mov_b32 s13, 0xbc60adb7
	v_fmac_f64_e32 v[6:7], s[12:13], v[2:3]
	v_mov_b32_e32 v8, 0x54ca8b19
	v_mov_b32_e32 v9, 0x3c60adb7
	s_mov_b32 s12, 0x12d98421
	v_fmac_f64_e32 v[8:9], v[2:3], v[6:7]
	s_mov_b32 s13, 0x3c89be18
	v_add_f64 v[8:9], v[8:9], s[12:13]
	s_mov_b32 s12, 0x76041cd
	v_fma_f64 v[6:7], v[2:3], v[8:9], -v[6:7]
	s_mov_b32 s13, 0x3c83f3dd
	v_add_f64 v[6:7], v[6:7], s[12:13]
	s_mov_b32 s12, 0xabd21fe4
	v_fma_f64 v[8:9], v[2:3], v[6:7], -v[8:9]
	s_mov_b32 s13, 0xbcb4600b
	v_add_f64 v[8:9], v[8:9], s[12:13]
	s_mov_b32 s12, 0xd908de38
	v_fma_f64 v[6:7], v[2:3], v[8:9], -v[6:7]
	s_mov_b32 s13, 0xbcb8aee7
	v_add_f64 v[6:7], v[6:7], s[12:13]
	s_mov_b32 s12, 0xa3eafb1f
	v_fma_f64 v[8:9], v[2:3], v[6:7], -v[8:9]
	s_mov_b32 s13, 0x3cdfee7d
	v_add_f64 v[8:9], v[8:9], s[12:13]
	s_mov_b32 s12, 0x9094e6d7
	v_fma_f64 v[6:7], v[2:3], v[8:9], -v[6:7]
	s_mov_b32 s13, 0x3cf12a91
	v_add_f64 v[6:7], v[6:7], s[12:13]
	s_mov_b32 s12, 0x7e65629a
	v_fma_f64 v[8:9], v[2:3], v[6:7], -v[8:9]
	s_mov_b32 s13, 0xbd0583fe
	v_add_f64 v[8:9], v[8:9], s[12:13]
	s_mov_b32 s12, 0xcf68bb32
	v_fma_f64 v[6:7], v[2:3], v[8:9], -v[6:7]
	s_mov_b32 s13, 0xbd275d99
	v_add_f64 v[6:7], v[6:7], s[12:13]
	s_mov_b32 s12, 0xd5fc545
	v_fma_f64 v[8:9], v[2:3], v[6:7], -v[8:9]
	s_mov_b32 s13, 0x3d1156ff
	v_add_f64 v[8:9], v[8:9], s[12:13]
	s_mov_b32 s12, 0x6b83c073
	v_fma_f64 v[6:7], v[2:3], v[8:9], -v[6:7]
	s_mov_b32 s13, 0x3d5b1c8c
	v_add_f64 v[6:7], v[6:7], s[12:13]
	s_mov_b32 s12, 0xfa268cec
	v_fma_f64 v[8:9], v[2:3], v[6:7], -v[8:9]
	s_mov_b32 s13, 0x3d694347
	v_add_f64 v[8:9], v[8:9], s[12:13]
	s_mov_b32 s12, 0x3178d66
	v_fma_f64 v[6:7], v[2:3], v[8:9], -v[6:7]
	s_mov_b32 s13, 0xbd7f9043
	v_add_f64 v[6:7], v[6:7], s[12:13]
	s_mov_b32 s12, 0x357e7bf2
	v_fma_f64 v[8:9], v[2:3], v[6:7], -v[8:9]
	s_mov_b32 s13, 0xbdad0fd7
	v_add_f64 v[8:9], v[8:9], s[12:13]
	s_mov_b32 s12, 0x8397425
	v_fma_f64 v[6:7], v[2:3], v[8:9], -v[6:7]
	s_mov_b32 s13, 0xbdc1511d
	v_add_f64 v[6:7], v[6:7], s[12:13]
	s_mov_b32 s12, 0xabe8004f
	v_fma_f64 v[8:9], v[2:3], v[6:7], -v[8:9]
	s_mov_b32 s13, 0x3daa24fe
	v_add_f64 v[8:9], v[8:9], s[12:13]
	s_mov_b32 s12, 0xc0f46f75
	v_fma_f64 v[6:7], v[2:3], v[8:9], -v[6:7]
	s_mov_b32 s13, 0x3e00f9cc
	v_add_f64 v[6:7], v[6:7], s[12:13]
	s_mov_b32 s12, 0xa9225b87
	v_fma_f64 v[8:9], v[2:3], v[6:7], -v[8:9]
	s_mov_b32 s13, 0x3e2d2c64
	v_add_f64 v[8:9], v[8:9], s[12:13]
	s_mov_b32 s12, 0x80d6d56d
	v_fma_f64 v[6:7], v[2:3], v[8:9], -v[6:7]
	s_mov_b32 s13, 0x3e585692
	v_add_f64 v[6:7], v[6:7], s[12:13]
	s_mov_b32 s12, 0xd9cd616e
	v_fma_f64 v[8:9], v[2:3], v[6:7], -v[8:9]
	s_mov_b32 s13, 0x3e8b8007
	v_add_f64 v[8:9], v[8:9], s[12:13]
	s_mov_b32 s12, 0xc101c586
	v_fma_f64 v[6:7], v[2:3], v[8:9], -v[6:7]
	s_mov_b32 s13, 0x3ec8412b
	v_add_f64 v[6:7], v[6:7], s[12:13]
	s_mov_b32 s12, 0x78999e52
	v_fma_f64 v[8:9], v[2:3], v[6:7], -v[8:9]
	s_mov_b32 s13, 0x3f120fa3
	v_add_f64 v[8:9], v[8:9], s[12:13]
	s_mov_b32 s12, 0xa2e59049
	v_fma_f64 v[6:7], v[2:3], v[8:9], -v[6:7]
	s_mov_b32 s13, 0x3f6b998c
	v_add_f64 v[6:7], v[6:7], s[12:13]
	s_mov_b32 s12, 0xaca809cb
	v_fma_f64 v[2:3], v[2:3], v[6:7], -v[8:9]
	s_mov_b32 s13, 0x3fe9be62
	v_add_f64 v[2:3], v[2:3], s[12:13]
	s_mov_b32 s12, 0x652b82fe
	s_mov_b32 s13, 0x3ff71547
	v_mul_f64 v[6:7], |v[22:23]|, s[12:13]
	s_mov_b32 s12, 0xfefa39ef
	v_rndne_f64_e32 v[6:7], v[6:7]
	s_mov_b32 s13, 0xbfe62e42
	v_fma_f64 v[10:11], v[6:7], s[12:13], |v[22:23]|
	s_mov_b32 s12, 0x3b39803f
	s_mov_b32 s13, 0xbc7abc9e
	v_fmac_f64_e32 v[10:11], s[12:13], v[6:7]
	s_mov_b32 s12, 0x6a5dcb37
	v_mov_b32_e32 v13, 0x3e928af3
	s_mov_b32 s13, 0x3e5ade15
	v_fmac_f64_e32 v[12:13], s[12:13], v[10:11]
	v_mov_b32_e32 v24, 0x623fde64
	v_mov_b32_e32 v25, 0x3ec71dee
	v_fmac_f64_e32 v[24:25], v[10:11], v[12:13]
	v_mov_b32_e32 v12, 0x7c89e6b0
	v_mov_b32_e32 v13, 0x3efa0199
	;; [unrolled: 3-line block ×8, first 2 shown]
	v_fmac_f64_e32 v[12:13], v[10:11], v[24:25]
	s_mov_b32 s12, 0
	v_fma_f64 v[12:13], v[10:11], v[12:13], 1.0
	s_mov_b32 s13, 0x40900000
	v_fma_f64 v[10:11], v[10:11], v[12:13], 1.0
	v_cvt_i32_f64_e32 v6, v[6:7]
	v_cmp_ngt_f64_e64 vcc, |v[22:23]|, s[12:13]
	s_mov_b32 s12, 0
	v_ldexp_f64 v[6:7], v[10:11], v6
	v_mov_b32_e32 v10, 0x7ff00000
	s_brev_b32 s13, 8
	v_cndmask_b32_e32 v7, v10, v7, vcc
	v_cndmask_b32_e32 v6, 0, v6, vcc
	v_cmp_lt_f64_e64 vcc, |v[22:23]|, s[12:13]
	v_cndmask_b32_e64 v10, 0, 1, vcc
	v_lshlrev_b32_e32 v10, 8, v10
	v_ldexp_f64 v[10:11], |v[22:23]|, v10
	v_rsq_f64_e32 v[12:13], v[10:11]
	v_add_f64 v[2:3], v[2:3], -v[8:9]
	v_mul_f64 v[2:3], v[2:3], 0.5
	v_mul_f64 v[2:3], v[6:7], v[2:3]
	v_mul_f64 v[6:7], v[10:11], v[12:13]
	v_mul_f64 v[8:9], v[12:13], 0.5
	v_fma_f64 v[12:13], -v[8:9], v[6:7], 0.5
	v_fmac_f64_e32 v[6:7], v[6:7], v[12:13]
	v_fma_f64 v[22:23], -v[6:7], v[6:7], v[10:11]
	v_fmac_f64_e32 v[8:9], v[8:9], v[12:13]
	v_fmac_f64_e32 v[6:7], v[22:23], v[8:9]
	v_fma_f64 v[12:13], -v[6:7], v[6:7], v[10:11]
	v_fmac_f64_e32 v[6:7], v[12:13], v[8:9]
	v_mov_b32_e32 v8, 0xffffff80
	v_cndmask_b32_e32 v8, 0, v8, vcc
	v_ldexp_f64 v[6:7], v[6:7], v8
	v_mov_b32_e32 v8, 0x260
	v_cmp_class_f64_e32 vcc, v[10:11], v8
	v_cndmask_b32_e32 v7, v7, v11, vcc
	v_cndmask_b32_e32 v6, v6, v10, vcc
	v_div_scale_f64 v[8:9], s[12:13], v[6:7], v[6:7], v[2:3]
	v_rcp_f64_e32 v[10:11], v[8:9]
	v_fma_f64 v[12:13], -v[8:9], v[10:11], 1.0
	v_fmac_f64_e32 v[10:11], v[10:11], v[12:13]
	v_fma_f64 v[12:13], -v[8:9], v[10:11], 1.0
	v_fmac_f64_e32 v[10:11], v[10:11], v[12:13]
	v_div_scale_f64 v[12:13], vcc, v[2:3], v[6:7], v[2:3]
	v_mul_f64 v[22:23], v[12:13], v[10:11]
	v_fma_f64 v[8:9], -v[8:9], v[22:23], v[12:13]
	s_nop 1
	v_div_fmas_f64 v[8:9], v[8:9], v[10:11], v[22:23]
	v_div_fixup_f64 v[6:7], v[8:9], v[6:7], v[2:3]
.LBB0_13:
	s_or_b64 exec, exec, s[8:9]
.LBB0_14:
	s_or_b64 exec, exec, s[6:7]
	v_add_u32_e32 v2, 0x100, v5
	v_cmp_lt_i32_e32 vcc, v2, v4
	s_and_saveexec_b64 s[6:7], vcc
	s_cbranch_execz .LBB0_20
; %bb.15:
	s_mov_b32 s8, 0
	s_mov_b32 s9, 0x40200000
	s_waitcnt vmcnt(0) lgkmcnt(0)
	v_cmp_le_f64_e64 s[8:9], |v[20:21]|, s[8:9]
	s_and_saveexec_b64 s[12:13], s[8:9]
	s_xor_b64 s[8:9], exec, s[12:13]
	s_cbranch_execz .LBB0_17
; %bb.16:
	s_mov_b32 s12, 0x2134d0ef
	v_fma_f64 v[8:9], |v[20:21]|, 0.5, -2.0
	v_mov_b32_e32 v22, 0x977da589
	v_mov_b32_e32 v23, 0x3c833362
	s_mov_b32 s13, 0xbc545cb7
	v_fmac_f64_e32 v[22:23], s[12:13], v[8:9]
	v_mov_b32_e32 v24, 0x2134d0ef
	v_mov_b32_e32 v25, 0x3c545cb7
	s_mov_b32 s12, 0x721ebbb4
	v_fmac_f64_e32 v[24:25], v[8:9], v[22:23]
	s_mov_b32 s13, 0xbcb184eb
	v_add_f64 v[24:25], v[24:25], s[12:13]
	s_mov_b32 s12, 0x93f65eba
	v_fma_f64 v[22:23], v[8:9], v[24:25], -v[22:23]
	s_mov_b32 s13, 0x3cdee6d8
	v_add_f64 v[22:23], v[22:23], s[12:13]
	s_mov_b32 s12, 0xc297fbeb
	v_fma_f64 v[24:25], v[8:9], v[22:23], -v[24:25]
	;; [unrolled: 4-line block ×27, first 2 shown]
	s_mov_b32 s13, 0x3fe5a84e
	v_add_f64 v[8:9], v[8:9], s[12:13]
	s_mov_b32 s12, 0x652b82fe
	s_mov_b32 s13, 0x3ff71547
	v_mul_f64 v[24:25], |v[20:21]|, s[12:13]
	s_mov_b32 s12, 0xfefa39ef
	v_rndne_f64_e32 v[24:25], v[24:25]
	s_mov_b32 s13, 0xbfe62e42
	v_fma_f64 v[26:27], v[24:25], s[12:13], |v[20:21]|
	s_mov_b32 s12, 0x3b39803f
	s_mov_b32 s13, 0xbc7abc9e
	v_fmac_f64_e32 v[26:27], s[12:13], v[24:25]
	s_mov_b32 s12, 0x6a5dcb37
	v_mov_b32_e32 v28, 0xfca7ab0c
	v_mov_b32_e32 v29, 0x3e928af3
	s_mov_b32 s13, 0x3e5ade15
	v_fmac_f64_e32 v[28:29], s[12:13], v[26:27]
	v_mov_b32_e32 v30, 0x623fde64
	v_mov_b32_e32 v31, 0x3ec71dee
	v_fmac_f64_e32 v[30:31], v[26:27], v[28:29]
	v_mov_b32_e32 v28, 0x7c89e6b0
	v_mov_b32_e32 v29, 0x3efa0199
	;; [unrolled: 3-line block ×8, first 2 shown]
	v_fmac_f64_e32 v[28:29], v[26:27], v[30:31]
	v_fma_f64 v[28:29], v[26:27], v[28:29], 1.0
	s_mov_b32 s12, 0
	v_fma_f64 v[26:27], v[26:27], v[28:29], 1.0
	v_cvt_i32_f64_e32 v3, v[24:25]
	s_mov_b32 s13, 0x40900000
	v_ldexp_f64 v[24:25], v[26:27], v3
	v_mov_b32_e32 v3, 0x7ff00000
	v_cmp_ngt_f64_e64 vcc, |v[20:21]|, s[12:13]
	v_add_f64 v[8:9], v[8:9], -v[22:23]
	v_cndmask_b32_e32 v21, v3, v25, vcc
	v_cndmask_b32_e32 v20, 0, v24, vcc
	v_mul_f64 v[8:9], v[8:9], 0.5
	v_mul_f64 v[8:9], v[20:21], v[8:9]
                                        ; implicit-def: $vgpr20_vgpr21
.LBB0_17:
	s_andn2_saveexec_b64 s[8:9], s[8:9]
	s_cbranch_execz .LBB0_19
; %bb.18:
	s_mov_b32 s12, 0
	v_and_b32_e32 v9, 0x7fffffff, v21
	v_mov_b32_e32 v8, v20
	s_mov_b32 s13, 0x40400000
	v_div_scale_f64 v[22:23], s[14:15], v[8:9], v[8:9], s[12:13]
	v_rcp_f64_e32 v[24:25], v[22:23]
	v_div_scale_f64 v[8:9], vcc, s[12:13], v[8:9], s[12:13]
	v_mov_b32_e32 v28, 0xfca7ab0c
	v_fma_f64 v[26:27], -v[22:23], v[24:25], 1.0
	v_fmac_f64_e32 v[24:25], v[24:25], v[26:27]
	v_fma_f64 v[26:27], -v[22:23], v[24:25], 1.0
	v_fmac_f64_e32 v[24:25], v[24:25], v[26:27]
	v_mul_f64 v[26:27], v[8:9], v[24:25]
	v_fma_f64 v[8:9], -v[22:23], v[26:27], v[8:9]
	v_div_fmas_f64 v[8:9], v[8:9], v[24:25], v[26:27]
	v_div_fixup_f64 v[8:9], v[8:9], |v[20:21]|, s[12:13]
	s_mov_b32 s12, 0x54ca8b19
	v_add_f64 v[8:9], v[8:9], -2.0
	v_mov_b32_e32 v22, 0x66119130
	v_mov_b32_e32 v23, 0xbc5646da
	s_mov_b32 s13, 0xbc60adb7
	v_fmac_f64_e32 v[22:23], s[12:13], v[8:9]
	v_mov_b32_e32 v24, 0x54ca8b19
	v_mov_b32_e32 v25, 0x3c60adb7
	s_mov_b32 s12, 0x12d98421
	v_fmac_f64_e32 v[24:25], v[8:9], v[22:23]
	s_mov_b32 s13, 0x3c89be18
	v_add_f64 v[24:25], v[24:25], s[12:13]
	s_mov_b32 s12, 0x76041cd
	v_fma_f64 v[22:23], v[8:9], v[24:25], -v[22:23]
	s_mov_b32 s13, 0x3c83f3dd
	v_add_f64 v[22:23], v[22:23], s[12:13]
	s_mov_b32 s12, 0xabd21fe4
	v_fma_f64 v[24:25], v[8:9], v[22:23], -v[24:25]
	;; [unrolled: 4-line block ×22, first 2 shown]
	s_mov_b32 s13, 0x3fe9be62
	v_add_f64 v[8:9], v[8:9], s[12:13]
	s_mov_b32 s12, 0x652b82fe
	s_mov_b32 s13, 0x3ff71547
	v_mul_f64 v[22:23], |v[20:21]|, s[12:13]
	s_mov_b32 s12, 0xfefa39ef
	v_rndne_f64_e32 v[22:23], v[22:23]
	s_mov_b32 s13, 0xbfe62e42
	v_fma_f64 v[26:27], v[22:23], s[12:13], |v[20:21]|
	s_mov_b32 s12, 0x3b39803f
	s_mov_b32 s13, 0xbc7abc9e
	v_fmac_f64_e32 v[26:27], s[12:13], v[22:23]
	s_mov_b32 s12, 0x6a5dcb37
	v_mov_b32_e32 v29, 0x3e928af3
	s_mov_b32 s13, 0x3e5ade15
	v_fmac_f64_e32 v[28:29], s[12:13], v[26:27]
	v_mov_b32_e32 v30, 0x623fde64
	v_mov_b32_e32 v31, 0x3ec71dee
	v_fmac_f64_e32 v[30:31], v[26:27], v[28:29]
	v_mov_b32_e32 v28, 0x7c89e6b0
	v_mov_b32_e32 v29, 0x3efa0199
	;; [unrolled: 3-line block ×8, first 2 shown]
	v_fmac_f64_e32 v[28:29], v[26:27], v[30:31]
	s_mov_b32 s12, 0
	v_fma_f64 v[28:29], v[26:27], v[28:29], 1.0
	s_mov_b32 s13, 0x40900000
	v_fma_f64 v[26:27], v[26:27], v[28:29], 1.0
	v_cvt_i32_f64_e32 v3, v[22:23]
	v_cmp_ngt_f64_e64 vcc, |v[20:21]|, s[12:13]
	s_mov_b32 s12, 0
	v_ldexp_f64 v[22:23], v[26:27], v3
	v_mov_b32_e32 v3, 0x7ff00000
	s_brev_b32 s13, 8
	v_cndmask_b32_e32 v23, v3, v23, vcc
	v_cndmask_b32_e32 v22, 0, v22, vcc
	v_cmp_lt_f64_e64 vcc, |v[20:21]|, s[12:13]
	v_cndmask_b32_e64 v3, 0, 1, vcc
	v_lshlrev_b32_e32 v3, 8, v3
	v_ldexp_f64 v[20:21], |v[20:21]|, v3
	v_rsq_f64_e32 v[26:27], v[20:21]
	v_add_f64 v[8:9], v[8:9], -v[24:25]
	v_mul_f64 v[8:9], v[8:9], 0.5
	v_mul_f64 v[8:9], v[22:23], v[8:9]
	v_mul_f64 v[22:23], v[20:21], v[26:27]
	v_mul_f64 v[24:25], v[26:27], 0.5
	v_fma_f64 v[26:27], -v[24:25], v[22:23], 0.5
	v_fmac_f64_e32 v[22:23], v[22:23], v[26:27]
	v_fma_f64 v[28:29], -v[22:23], v[22:23], v[20:21]
	v_fmac_f64_e32 v[24:25], v[24:25], v[26:27]
	v_fmac_f64_e32 v[22:23], v[28:29], v[24:25]
	v_fma_f64 v[26:27], -v[22:23], v[22:23], v[20:21]
	v_mov_b32_e32 v3, 0xffffff80
	v_fmac_f64_e32 v[22:23], v[26:27], v[24:25]
	v_cndmask_b32_e32 v3, 0, v3, vcc
	v_ldexp_f64 v[22:23], v[22:23], v3
	v_mov_b32_e32 v3, 0x260
	v_cmp_class_f64_e32 vcc, v[20:21], v3
	v_cndmask_b32_e32 v21, v23, v21, vcc
	v_cndmask_b32_e32 v20, v22, v20, vcc
	v_div_scale_f64 v[22:23], s[12:13], v[20:21], v[20:21], v[8:9]
	v_rcp_f64_e32 v[24:25], v[22:23]
	v_fma_f64 v[26:27], -v[22:23], v[24:25], 1.0
	v_fmac_f64_e32 v[24:25], v[24:25], v[26:27]
	v_fma_f64 v[26:27], -v[22:23], v[24:25], 1.0
	v_fmac_f64_e32 v[24:25], v[24:25], v[26:27]
	v_div_scale_f64 v[26:27], vcc, v[8:9], v[20:21], v[8:9]
	v_mul_f64 v[28:29], v[26:27], v[24:25]
	v_fma_f64 v[22:23], -v[22:23], v[28:29], v[26:27]
	s_nop 1
	v_div_fmas_f64 v[22:23], v[22:23], v[24:25], v[28:29]
	v_div_fixup_f64 v[8:9], v[22:23], v[20:21], v[8:9]
.LBB0_19:
	s_or_b64 exec, exec, s[8:9]
.LBB0_20:
	s_or_b64 exec, exec, s[6:7]
	v_add_u32_e32 v3, 0x200, v5
	v_cmp_lt_i32_e32 vcc, v3, v4
	s_and_saveexec_b64 s[6:7], vcc
	s_cbranch_execz .LBB0_26
; %bb.21:
	s_mov_b32 s8, 0
	s_mov_b32 s9, 0x40200000
	s_waitcnt vmcnt(0) lgkmcnt(0)
	v_cmp_le_f64_e64 s[8:9], |v[18:19]|, s[8:9]
	s_and_saveexec_b64 s[12:13], s[8:9]
	s_xor_b64 s[8:9], exec, s[12:13]
	s_cbranch_execz .LBB0_23
; %bb.22:
	s_mov_b32 s12, 0x2134d0ef
	v_fma_f64 v[10:11], |v[18:19]|, 0.5, -2.0
	v_mov_b32_e32 v20, 0x977da589
	v_mov_b32_e32 v21, 0x3c833362
	s_mov_b32 s13, 0xbc545cb7
	v_fmac_f64_e32 v[20:21], s[12:13], v[10:11]
	v_mov_b32_e32 v22, 0x2134d0ef
	v_mov_b32_e32 v23, 0x3c545cb7
	s_mov_b32 s12, 0x721ebbb4
	v_fmac_f64_e32 v[22:23], v[10:11], v[20:21]
	s_mov_b32 s13, 0xbcb184eb
	v_add_f64 v[22:23], v[22:23], s[12:13]
	s_mov_b32 s12, 0x93f65eba
	v_fma_f64 v[20:21], v[10:11], v[22:23], -v[20:21]
	s_mov_b32 s13, 0x3cdee6d8
	v_add_f64 v[20:21], v[20:21], s[12:13]
	s_mov_b32 s12, 0xc297fbeb
	v_fma_f64 v[22:23], v[10:11], v[20:21], -v[22:23]
	;; [unrolled: 4-line block ×27, first 2 shown]
	s_mov_b32 s13, 0x3fe5a84e
	v_add_f64 v[10:11], v[10:11], s[12:13]
	s_mov_b32 s12, 0x652b82fe
	s_mov_b32 s13, 0x3ff71547
	v_mul_f64 v[22:23], |v[18:19]|, s[12:13]
	s_mov_b32 s12, 0xfefa39ef
	v_rndne_f64_e32 v[22:23], v[22:23]
	s_mov_b32 s13, 0xbfe62e42
	v_fma_f64 v[24:25], v[22:23], s[12:13], |v[18:19]|
	s_mov_b32 s12, 0x3b39803f
	s_mov_b32 s13, 0xbc7abc9e
	v_fmac_f64_e32 v[24:25], s[12:13], v[22:23]
	s_mov_b32 s12, 0x6a5dcb37
	v_mov_b32_e32 v26, 0xfca7ab0c
	v_mov_b32_e32 v27, 0x3e928af3
	s_mov_b32 s13, 0x3e5ade15
	v_fmac_f64_e32 v[26:27], s[12:13], v[24:25]
	v_mov_b32_e32 v28, 0x623fde64
	v_mov_b32_e32 v29, 0x3ec71dee
	v_fmac_f64_e32 v[28:29], v[24:25], v[26:27]
	v_mov_b32_e32 v26, 0x7c89e6b0
	v_mov_b32_e32 v27, 0x3efa0199
	;; [unrolled: 3-line block ×8, first 2 shown]
	v_fmac_f64_e32 v[26:27], v[24:25], v[28:29]
	v_fma_f64 v[26:27], v[24:25], v[26:27], 1.0
	s_mov_b32 s12, 0
	v_fma_f64 v[24:25], v[24:25], v[26:27], 1.0
	v_cvt_i32_f64_e32 v3, v[22:23]
	s_mov_b32 s13, 0x40900000
	v_ldexp_f64 v[22:23], v[24:25], v3
	v_mov_b32_e32 v3, 0x7ff00000
	v_cmp_ngt_f64_e64 vcc, |v[18:19]|, s[12:13]
	v_add_f64 v[10:11], v[10:11], -v[20:21]
	v_cndmask_b32_e32 v19, v3, v23, vcc
	v_cndmask_b32_e32 v18, 0, v22, vcc
	v_mul_f64 v[10:11], v[10:11], 0.5
	v_mul_f64 v[10:11], v[18:19], v[10:11]
                                        ; implicit-def: $vgpr18_vgpr19
.LBB0_23:
	s_andn2_saveexec_b64 s[8:9], s[8:9]
	s_cbranch_execz .LBB0_25
; %bb.24:
	s_mov_b32 s12, 0
	v_and_b32_e32 v11, 0x7fffffff, v19
	v_mov_b32_e32 v10, v18
	s_mov_b32 s13, 0x40400000
	v_div_scale_f64 v[20:21], s[14:15], v[10:11], v[10:11], s[12:13]
	v_rcp_f64_e32 v[22:23], v[20:21]
	v_div_scale_f64 v[10:11], vcc, s[12:13], v[10:11], s[12:13]
	v_mov_b32_e32 v26, 0xfca7ab0c
	v_fma_f64 v[24:25], -v[20:21], v[22:23], 1.0
	v_fmac_f64_e32 v[22:23], v[22:23], v[24:25]
	v_fma_f64 v[24:25], -v[20:21], v[22:23], 1.0
	v_fmac_f64_e32 v[22:23], v[22:23], v[24:25]
	v_mul_f64 v[24:25], v[10:11], v[22:23]
	v_fma_f64 v[10:11], -v[20:21], v[24:25], v[10:11]
	v_div_fmas_f64 v[10:11], v[10:11], v[22:23], v[24:25]
	v_div_fixup_f64 v[10:11], v[10:11], |v[18:19]|, s[12:13]
	s_mov_b32 s12, 0x54ca8b19
	v_add_f64 v[10:11], v[10:11], -2.0
	v_mov_b32_e32 v20, 0x66119130
	v_mov_b32_e32 v21, 0xbc5646da
	s_mov_b32 s13, 0xbc60adb7
	v_fmac_f64_e32 v[20:21], s[12:13], v[10:11]
	v_mov_b32_e32 v22, 0x54ca8b19
	v_mov_b32_e32 v23, 0x3c60adb7
	s_mov_b32 s12, 0x12d98421
	v_fmac_f64_e32 v[22:23], v[10:11], v[20:21]
	s_mov_b32 s13, 0x3c89be18
	v_add_f64 v[22:23], v[22:23], s[12:13]
	s_mov_b32 s12, 0x76041cd
	v_fma_f64 v[20:21], v[10:11], v[22:23], -v[20:21]
	s_mov_b32 s13, 0x3c83f3dd
	v_add_f64 v[20:21], v[20:21], s[12:13]
	s_mov_b32 s12, 0xabd21fe4
	v_fma_f64 v[22:23], v[10:11], v[20:21], -v[22:23]
	s_mov_b32 s13, 0xbcb4600b
	v_add_f64 v[22:23], v[22:23], s[12:13]
	s_mov_b32 s12, 0xd908de38
	v_fma_f64 v[20:21], v[10:11], v[22:23], -v[20:21]
	s_mov_b32 s13, 0xbcb8aee7
	v_add_f64 v[20:21], v[20:21], s[12:13]
	s_mov_b32 s12, 0xa3eafb1f
	v_fma_f64 v[22:23], v[10:11], v[20:21], -v[22:23]
	s_mov_b32 s13, 0x3cdfee7d
	v_add_f64 v[22:23], v[22:23], s[12:13]
	s_mov_b32 s12, 0x9094e6d7
	v_fma_f64 v[20:21], v[10:11], v[22:23], -v[20:21]
	s_mov_b32 s13, 0x3cf12a91
	v_add_f64 v[20:21], v[20:21], s[12:13]
	s_mov_b32 s12, 0x7e65629a
	v_fma_f64 v[22:23], v[10:11], v[20:21], -v[22:23]
	s_mov_b32 s13, 0xbd0583fe
	v_add_f64 v[22:23], v[22:23], s[12:13]
	s_mov_b32 s12, 0xcf68bb32
	v_fma_f64 v[20:21], v[10:11], v[22:23], -v[20:21]
	s_mov_b32 s13, 0xbd275d99
	v_add_f64 v[20:21], v[20:21], s[12:13]
	s_mov_b32 s12, 0xd5fc545
	v_fma_f64 v[22:23], v[10:11], v[20:21], -v[22:23]
	s_mov_b32 s13, 0x3d1156ff
	v_add_f64 v[22:23], v[22:23], s[12:13]
	s_mov_b32 s12, 0x6b83c073
	v_fma_f64 v[20:21], v[10:11], v[22:23], -v[20:21]
	s_mov_b32 s13, 0x3d5b1c8c
	v_add_f64 v[20:21], v[20:21], s[12:13]
	s_mov_b32 s12, 0xfa268cec
	v_fma_f64 v[22:23], v[10:11], v[20:21], -v[22:23]
	s_mov_b32 s13, 0x3d694347
	v_add_f64 v[22:23], v[22:23], s[12:13]
	s_mov_b32 s12, 0x3178d66
	v_fma_f64 v[20:21], v[10:11], v[22:23], -v[20:21]
	s_mov_b32 s13, 0xbd7f9043
	v_add_f64 v[20:21], v[20:21], s[12:13]
	s_mov_b32 s12, 0x357e7bf2
	v_fma_f64 v[22:23], v[10:11], v[20:21], -v[22:23]
	s_mov_b32 s13, 0xbdad0fd7
	v_add_f64 v[22:23], v[22:23], s[12:13]
	s_mov_b32 s12, 0x8397425
	v_fma_f64 v[20:21], v[10:11], v[22:23], -v[20:21]
	s_mov_b32 s13, 0xbdc1511d
	v_add_f64 v[20:21], v[20:21], s[12:13]
	s_mov_b32 s12, 0xabe8004f
	v_fma_f64 v[22:23], v[10:11], v[20:21], -v[22:23]
	s_mov_b32 s13, 0x3daa24fe
	v_add_f64 v[22:23], v[22:23], s[12:13]
	s_mov_b32 s12, 0xc0f46f75
	v_fma_f64 v[20:21], v[10:11], v[22:23], -v[20:21]
	s_mov_b32 s13, 0x3e00f9cc
	v_add_f64 v[20:21], v[20:21], s[12:13]
	s_mov_b32 s12, 0xa9225b87
	v_fma_f64 v[22:23], v[10:11], v[20:21], -v[22:23]
	s_mov_b32 s13, 0x3e2d2c64
	v_add_f64 v[22:23], v[22:23], s[12:13]
	s_mov_b32 s12, 0x80d6d56d
	v_fma_f64 v[20:21], v[10:11], v[22:23], -v[20:21]
	s_mov_b32 s13, 0x3e585692
	v_add_f64 v[20:21], v[20:21], s[12:13]
	s_mov_b32 s12, 0xd9cd616e
	v_fma_f64 v[22:23], v[10:11], v[20:21], -v[22:23]
	s_mov_b32 s13, 0x3e8b8007
	v_add_f64 v[22:23], v[22:23], s[12:13]
	s_mov_b32 s12, 0xc101c586
	v_fma_f64 v[20:21], v[10:11], v[22:23], -v[20:21]
	s_mov_b32 s13, 0x3ec8412b
	v_add_f64 v[20:21], v[20:21], s[12:13]
	s_mov_b32 s12, 0x78999e52
	v_fma_f64 v[22:23], v[10:11], v[20:21], -v[22:23]
	s_mov_b32 s13, 0x3f120fa3
	v_add_f64 v[22:23], v[22:23], s[12:13]
	s_mov_b32 s12, 0xa2e59049
	v_fma_f64 v[20:21], v[10:11], v[22:23], -v[20:21]
	s_mov_b32 s13, 0x3f6b998c
	v_add_f64 v[20:21], v[20:21], s[12:13]
	s_mov_b32 s12, 0xaca809cb
	v_fma_f64 v[10:11], v[10:11], v[20:21], -v[22:23]
	s_mov_b32 s13, 0x3fe9be62
	v_add_f64 v[10:11], v[10:11], s[12:13]
	s_mov_b32 s12, 0x652b82fe
	s_mov_b32 s13, 0x3ff71547
	v_mul_f64 v[20:21], |v[18:19]|, s[12:13]
	s_mov_b32 s12, 0xfefa39ef
	v_rndne_f64_e32 v[20:21], v[20:21]
	s_mov_b32 s13, 0xbfe62e42
	v_fma_f64 v[24:25], v[20:21], s[12:13], |v[18:19]|
	s_mov_b32 s12, 0x3b39803f
	s_mov_b32 s13, 0xbc7abc9e
	v_fmac_f64_e32 v[24:25], s[12:13], v[20:21]
	s_mov_b32 s12, 0x6a5dcb37
	v_mov_b32_e32 v27, 0x3e928af3
	s_mov_b32 s13, 0x3e5ade15
	v_fmac_f64_e32 v[26:27], s[12:13], v[24:25]
	v_mov_b32_e32 v28, 0x623fde64
	v_mov_b32_e32 v29, 0x3ec71dee
	v_fmac_f64_e32 v[28:29], v[24:25], v[26:27]
	v_mov_b32_e32 v26, 0x7c89e6b0
	v_mov_b32_e32 v27, 0x3efa0199
	;; [unrolled: 3-line block ×8, first 2 shown]
	v_fmac_f64_e32 v[26:27], v[24:25], v[28:29]
	s_mov_b32 s12, 0
	v_fma_f64 v[26:27], v[24:25], v[26:27], 1.0
	s_mov_b32 s13, 0x40900000
	v_fma_f64 v[24:25], v[24:25], v[26:27], 1.0
	v_cvt_i32_f64_e32 v3, v[20:21]
	v_cmp_ngt_f64_e64 vcc, |v[18:19]|, s[12:13]
	s_mov_b32 s12, 0
	v_ldexp_f64 v[20:21], v[24:25], v3
	v_mov_b32_e32 v3, 0x7ff00000
	s_brev_b32 s13, 8
	v_cndmask_b32_e32 v21, v3, v21, vcc
	v_cndmask_b32_e32 v20, 0, v20, vcc
	v_cmp_lt_f64_e64 vcc, |v[18:19]|, s[12:13]
	v_cndmask_b32_e64 v3, 0, 1, vcc
	v_lshlrev_b32_e32 v3, 8, v3
	v_ldexp_f64 v[18:19], |v[18:19]|, v3
	v_rsq_f64_e32 v[24:25], v[18:19]
	v_add_f64 v[10:11], v[10:11], -v[22:23]
	v_mul_f64 v[10:11], v[10:11], 0.5
	v_mul_f64 v[10:11], v[20:21], v[10:11]
	v_mul_f64 v[20:21], v[18:19], v[24:25]
	v_mul_f64 v[22:23], v[24:25], 0.5
	v_fma_f64 v[24:25], -v[22:23], v[20:21], 0.5
	v_fmac_f64_e32 v[20:21], v[20:21], v[24:25]
	v_fma_f64 v[26:27], -v[20:21], v[20:21], v[18:19]
	v_fmac_f64_e32 v[22:23], v[22:23], v[24:25]
	v_fmac_f64_e32 v[20:21], v[26:27], v[22:23]
	v_fma_f64 v[24:25], -v[20:21], v[20:21], v[18:19]
	v_mov_b32_e32 v3, 0xffffff80
	v_fmac_f64_e32 v[20:21], v[24:25], v[22:23]
	v_cndmask_b32_e32 v3, 0, v3, vcc
	v_ldexp_f64 v[20:21], v[20:21], v3
	v_mov_b32_e32 v3, 0x260
	v_cmp_class_f64_e32 vcc, v[18:19], v3
	v_cndmask_b32_e32 v19, v21, v19, vcc
	v_cndmask_b32_e32 v18, v20, v18, vcc
	v_div_scale_f64 v[20:21], s[12:13], v[18:19], v[18:19], v[10:11]
	v_rcp_f64_e32 v[22:23], v[20:21]
	v_fma_f64 v[24:25], -v[20:21], v[22:23], 1.0
	v_fmac_f64_e32 v[22:23], v[22:23], v[24:25]
	v_fma_f64 v[24:25], -v[20:21], v[22:23], 1.0
	v_fmac_f64_e32 v[22:23], v[22:23], v[24:25]
	v_div_scale_f64 v[24:25], vcc, v[10:11], v[18:19], v[10:11]
	v_mul_f64 v[26:27], v[24:25], v[22:23]
	v_fma_f64 v[20:21], -v[20:21], v[26:27], v[24:25]
	s_nop 1
	v_div_fmas_f64 v[20:21], v[20:21], v[22:23], v[26:27]
	v_div_fixup_f64 v[10:11], v[20:21], v[18:19], v[10:11]
.LBB0_25:
	s_or_b64 exec, exec, s[8:9]
.LBB0_26:
	s_or_b64 exec, exec, s[6:7]
	v_add_u32_e32 v3, 0x300, v5
	v_cmp_lt_i32_e32 vcc, v3, v4
	s_and_saveexec_b64 s[6:7], vcc
	s_cbranch_execnz .LBB0_32
; %bb.27:
	s_or_b64 exec, exec, s[6:7]
	s_and_saveexec_b64 s[6:7], s[4:5]
	s_xor_b64 s[4:5], exec, s[6:7]
	s_cbranch_execnz .LBB0_37
.LBB0_28:
	s_or_b64 exec, exec, s[4:5]
	v_cmp_lt_i32_e32 vcc, v5, v4
	s_and_saveexec_b64 s[4:5], vcc
	s_cbranch_execnz .LBB0_38
.LBB0_29:
	s_or_b64 exec, exec, s[4:5]
	v_cmp_lt_i32_e32 vcc, v5, v4
	s_and_saveexec_b64 s[4:5], vcc
	s_cbranch_execnz .LBB0_39
.LBB0_30:
	s_or_b64 exec, exec, s[4:5]
	v_cmp_lt_i32_e32 vcc, v5, v4
	s_and_saveexec_b64 s[4:5], vcc
	s_cbranch_execnz .LBB0_40
.LBB0_31:
	s_or_b64 exec, exec, s[4:5]
	s_waitcnt vmcnt(0) lgkmcnt(0)
	s_setpc_b64 s[30:31]
.LBB0_32:
	s_mov_b32 s8, 0
	s_mov_b32 s9, 0x40200000
	s_waitcnt vmcnt(0) lgkmcnt(0)
	v_cmp_le_f64_e64 s[8:9], |v[16:17]|, s[8:9]
	s_and_saveexec_b64 s[12:13], s[8:9]
	s_xor_b64 s[8:9], exec, s[12:13]
	s_cbranch_execz .LBB0_34
; %bb.33:
	s_mov_b32 s12, 0x2134d0ef
	v_fma_f64 v[12:13], |v[16:17]|, 0.5, -2.0
	v_mov_b32_e32 v18, 0x977da589
	v_mov_b32_e32 v19, 0x3c833362
	s_mov_b32 s13, 0xbc545cb7
	v_fmac_f64_e32 v[18:19], s[12:13], v[12:13]
	v_mov_b32_e32 v20, 0x2134d0ef
	v_mov_b32_e32 v21, 0x3c545cb7
	s_mov_b32 s12, 0x721ebbb4
	v_fmac_f64_e32 v[20:21], v[12:13], v[18:19]
	s_mov_b32 s13, 0xbcb184eb
	v_add_f64 v[20:21], v[20:21], s[12:13]
	s_mov_b32 s12, 0x93f65eba
	v_fma_f64 v[18:19], v[12:13], v[20:21], -v[18:19]
	s_mov_b32 s13, 0x3cdee6d8
	v_add_f64 v[18:19], v[18:19], s[12:13]
	s_mov_b32 s12, 0xc297fbeb
	v_fma_f64 v[20:21], v[12:13], v[18:19], -v[20:21]
	s_mov_b32 s13, 0xbd0a5022
	v_add_f64 v[20:21], v[20:21], s[12:13]
	s_mov_b32 s12, 0x4b262627
	v_fma_f64 v[18:19], v[12:13], v[20:21], -v[18:19]
	s_mov_b32 s13, 0x3d359b46
	v_add_f64 v[18:19], v[18:19], s[12:13]
	s_mov_b32 s12, 0x62ee1af0
	v_fma_f64 v[20:21], v[12:13], v[18:19], -v[20:21]
	s_mov_b32 s13, 0xbd61164c
	v_add_f64 v[20:21], v[20:21], s[12:13]
	s_mov_b32 s12, 0xe19bd324
	v_fma_f64 v[18:19], v[12:13], v[20:21], -v[18:19]
	s_mov_b32 s13, 0x3d89fe2f
	v_add_f64 v[18:19], v[18:19], s[12:13]
	s_mov_b32 s12, 0x7a946abc
	v_fma_f64 v[20:21], v[12:13], v[18:19], -v[20:21]
	s_mov_b32 s13, 0xbdb2fc95
	v_add_f64 v[20:21], v[20:21], s[12:13]
	s_mov_b32 s12, 0xcc743c10
	v_fma_f64 v[18:19], v[12:13], v[20:21], -v[18:19]
	s_mov_b32 s13, 0x3dda98be
	v_add_f64 v[18:19], v[18:19], s[12:13]
	s_mov_b32 s12, 0x13ae9556
	v_fma_f64 v[20:21], v[12:13], v[18:19], -v[20:21]
	s_mov_b32 s13, 0xbe01d4fe
	v_add_f64 v[20:21], v[20:21], s[12:13]
	s_mov_b32 s12, 0xa454cb34
	v_fma_f64 v[18:19], v[12:13], v[20:21], -v[18:19]
	s_mov_b32 s13, 0x3e26d903
	v_add_f64 v[18:19], v[18:19], s[12:13]
	s_mov_b32 s12, 0x8c0b30ab
	v_fma_f64 v[20:21], v[12:13], v[18:19], -v[20:21]
	s_mov_b32 s13, 0xbe4beaf6
	v_add_f64 v[20:21], v[20:21], s[12:13]
	s_mov_b32 s12, 0x9d4d6435
	v_fma_f64 v[18:19], v[12:13], v[20:21], -v[18:19]
	s_mov_b32 s13, 0x3e703b76
	v_add_f64 v[18:19], v[18:19], s[12:13]
	s_mov_b32 s12, 0x8f227f8d
	v_fma_f64 v[20:21], v[12:13], v[18:19], -v[20:21]
	s_mov_b32 s13, 0xbe91ec63
	v_add_f64 v[20:21], v[20:21], s[12:13]
	s_mov_b32 s12, 0x978cf4ac
	v_fma_f64 v[18:19], v[12:13], v[20:21], -v[18:19]
	s_mov_b32 s13, 0x3eb2bf24
	v_add_f64 v[18:19], v[18:19], s[12:13]
	s_mov_b32 s12, 0xcba56427
	v_fma_f64 v[20:21], v[12:13], v[18:19], -v[20:21]
	s_mov_b32 s13, 0xbed2866f
	v_add_f64 v[20:21], v[20:21], s[12:13]
	s_mov_b32 s12, 0xbe9a2859
	v_fma_f64 v[18:19], v[12:13], v[20:21], -v[18:19]
	s_mov_b32 s13, 0x3ef13f58
	v_add_f64 v[18:19], v[18:19], s[12:13]
	s_mov_b32 s12, 0x59c41d5a
	v_fma_f64 v[20:21], v[12:13], v[18:19], -v[20:21]
	s_mov_b32 s13, 0xbf0e2b26
	v_add_f64 v[20:21], v[20:21], s[12:13]
	s_mov_b32 s12, 0x74107cab
	v_fma_f64 v[18:19], v[12:13], v[20:21], -v[18:19]
	s_mov_b32 s13, 0x3f28b51b
	v_add_f64 v[18:19], v[18:19], s[12:13]
	s_mov_b32 s12, 0x1f15eb52
	v_fma_f64 v[20:21], v[12:13], v[18:19], -v[20:21]
	s_mov_b32 s13, 0xbf42e2fd
	v_add_f64 v[20:21], v[20:21], s[12:13]
	s_mov_b32 s12, 0x8a12100e
	v_fma_f64 v[18:19], v[12:13], v[20:21], -v[18:19]
	s_mov_b32 s13, 0x3f5adc75
	v_add_f64 v[18:19], v[18:19], s[12:13]
	s_mov_b32 s12, 0x201aa849
	v_fma_f64 v[20:21], v[12:13], v[18:19], -v[20:21]
	s_mov_b32 s13, 0xbf71b65e
	v_add_f64 v[20:21], v[20:21], s[12:13]
	s_mov_b32 s12, 0xf3dde3dd
	v_fma_f64 v[18:19], v[12:13], v[20:21], -v[18:19]
	s_mov_b32 s13, 0x3f859961
	v_add_f64 v[18:19], v[18:19], s[12:13]
	s_mov_b32 s12, 0xf121b6f0
	v_fma_f64 v[20:21], v[12:13], v[18:19], -v[20:21]
	s_mov_b32 s13, 0xbf984e9e
	v_add_f64 v[20:21], v[20:21], s[12:13]
	s_mov_b32 s12, 0xcea8a32d
	v_fma_f64 v[18:19], v[12:13], v[20:21], -v[18:19]
	s_mov_b32 s13, 0x3fa93e8a
	v_add_f64 v[18:19], v[18:19], s[12:13]
	s_mov_b32 s12, 0x342d06ea
	v_fma_f64 v[20:21], v[12:13], v[18:19], -v[20:21]
	s_mov_b32 s13, 0xbfb84b70
	v_add_f64 v[20:21], v[20:21], s[12:13]
	s_mov_b32 s12, 0x77ac88c0
	v_fma_f64 v[18:19], v[12:13], v[20:21], -v[18:19]
	s_mov_b32 s13, 0x3fc5f7ac
	v_add_f64 v[18:19], v[18:19], s[12:13]
	s_mov_b32 s12, 0xc057cd8d
	v_fma_f64 v[20:21], v[12:13], v[18:19], -v[20:21]
	s_mov_b32 s13, 0xbfd37feb
	v_add_f64 v[20:21], v[20:21], s[12:13]
	s_mov_b32 s12, 0x9035a22a
	v_fma_f64 v[12:13], v[12:13], v[20:21], -v[18:19]
	s_mov_b32 s13, 0x3fe5a84e
	v_add_f64 v[12:13], v[12:13], s[12:13]
	s_mov_b32 s12, 0x652b82fe
	s_mov_b32 s13, 0x3ff71547
	v_mul_f64 v[20:21], |v[16:17]|, s[12:13]
	s_mov_b32 s12, 0xfefa39ef
	v_rndne_f64_e32 v[20:21], v[20:21]
	s_mov_b32 s13, 0xbfe62e42
	v_fma_f64 v[22:23], v[20:21], s[12:13], |v[16:17]|
	s_mov_b32 s12, 0x3b39803f
	s_mov_b32 s13, 0xbc7abc9e
	v_fmac_f64_e32 v[22:23], s[12:13], v[20:21]
	s_mov_b32 s12, 0x6a5dcb37
	v_mov_b32_e32 v24, 0xfca7ab0c
	v_mov_b32_e32 v25, 0x3e928af3
	s_mov_b32 s13, 0x3e5ade15
	v_fmac_f64_e32 v[24:25], s[12:13], v[22:23]
	v_mov_b32_e32 v26, 0x623fde64
	v_mov_b32_e32 v27, 0x3ec71dee
	v_fmac_f64_e32 v[26:27], v[22:23], v[24:25]
	v_mov_b32_e32 v24, 0x7c89e6b0
	v_mov_b32_e32 v25, 0x3efa0199
	;; [unrolled: 3-line block ×8, first 2 shown]
	v_fmac_f64_e32 v[24:25], v[22:23], v[26:27]
	v_fma_f64 v[24:25], v[22:23], v[24:25], 1.0
	s_mov_b32 s12, 0
	v_fma_f64 v[22:23], v[22:23], v[24:25], 1.0
	v_cvt_i32_f64_e32 v3, v[20:21]
	s_mov_b32 s13, 0x40900000
	v_ldexp_f64 v[20:21], v[22:23], v3
	v_mov_b32_e32 v3, 0x7ff00000
	v_cmp_ngt_f64_e64 vcc, |v[16:17]|, s[12:13]
	v_add_f64 v[12:13], v[12:13], -v[18:19]
	v_cndmask_b32_e32 v17, v3, v21, vcc
	v_cndmask_b32_e32 v16, 0, v20, vcc
	v_mul_f64 v[12:13], v[12:13], 0.5
	v_mul_f64 v[12:13], v[16:17], v[12:13]
                                        ; implicit-def: $vgpr16_vgpr17
.LBB0_34:
	s_andn2_saveexec_b64 s[8:9], s[8:9]
	s_cbranch_execz .LBB0_36
; %bb.35:
	s_mov_b32 s12, 0
	v_and_b32_e32 v13, 0x7fffffff, v17
	v_mov_b32_e32 v12, v16
	s_mov_b32 s13, 0x40400000
	v_div_scale_f64 v[18:19], s[14:15], v[12:13], v[12:13], s[12:13]
	v_rcp_f64_e32 v[20:21], v[18:19]
	v_div_scale_f64 v[12:13], vcc, s[12:13], v[12:13], s[12:13]
	v_mov_b32_e32 v24, 0xfca7ab0c
	v_fma_f64 v[22:23], -v[18:19], v[20:21], 1.0
	v_fmac_f64_e32 v[20:21], v[20:21], v[22:23]
	v_fma_f64 v[22:23], -v[18:19], v[20:21], 1.0
	v_fmac_f64_e32 v[20:21], v[20:21], v[22:23]
	v_mul_f64 v[22:23], v[12:13], v[20:21]
	v_fma_f64 v[12:13], -v[18:19], v[22:23], v[12:13]
	v_div_fmas_f64 v[12:13], v[12:13], v[20:21], v[22:23]
	v_div_fixup_f64 v[12:13], v[12:13], |v[16:17]|, s[12:13]
	s_mov_b32 s12, 0x54ca8b19
	v_add_f64 v[12:13], v[12:13], -2.0
	v_mov_b32_e32 v18, 0x66119130
	v_mov_b32_e32 v19, 0xbc5646da
	s_mov_b32 s13, 0xbc60adb7
	v_fmac_f64_e32 v[18:19], s[12:13], v[12:13]
	v_mov_b32_e32 v20, 0x54ca8b19
	v_mov_b32_e32 v21, 0x3c60adb7
	s_mov_b32 s12, 0x12d98421
	v_fmac_f64_e32 v[20:21], v[12:13], v[18:19]
	s_mov_b32 s13, 0x3c89be18
	v_add_f64 v[20:21], v[20:21], s[12:13]
	s_mov_b32 s12, 0x76041cd
	v_fma_f64 v[18:19], v[12:13], v[20:21], -v[18:19]
	s_mov_b32 s13, 0x3c83f3dd
	v_add_f64 v[18:19], v[18:19], s[12:13]
	s_mov_b32 s12, 0xabd21fe4
	v_fma_f64 v[20:21], v[12:13], v[18:19], -v[20:21]
	;; [unrolled: 4-line block ×22, first 2 shown]
	s_mov_b32 s13, 0x3fe9be62
	v_add_f64 v[12:13], v[12:13], s[12:13]
	s_mov_b32 s12, 0x652b82fe
	s_mov_b32 s13, 0x3ff71547
	v_mul_f64 v[18:19], |v[16:17]|, s[12:13]
	s_mov_b32 s12, 0xfefa39ef
	v_rndne_f64_e32 v[18:19], v[18:19]
	s_mov_b32 s13, 0xbfe62e42
	v_fma_f64 v[22:23], v[18:19], s[12:13], |v[16:17]|
	s_mov_b32 s12, 0x3b39803f
	s_mov_b32 s13, 0xbc7abc9e
	v_fmac_f64_e32 v[22:23], s[12:13], v[18:19]
	s_mov_b32 s12, 0x6a5dcb37
	v_mov_b32_e32 v25, 0x3e928af3
	s_mov_b32 s13, 0x3e5ade15
	v_fmac_f64_e32 v[24:25], s[12:13], v[22:23]
	v_mov_b32_e32 v26, 0x623fde64
	v_mov_b32_e32 v27, 0x3ec71dee
	v_fmac_f64_e32 v[26:27], v[22:23], v[24:25]
	v_mov_b32_e32 v24, 0x7c89e6b0
	v_mov_b32_e32 v25, 0x3efa0199
	;; [unrolled: 3-line block ×8, first 2 shown]
	v_fmac_f64_e32 v[24:25], v[22:23], v[26:27]
	s_mov_b32 s12, 0
	v_fma_f64 v[24:25], v[22:23], v[24:25], 1.0
	s_mov_b32 s13, 0x40900000
	v_fma_f64 v[22:23], v[22:23], v[24:25], 1.0
	v_cvt_i32_f64_e32 v3, v[18:19]
	v_cmp_ngt_f64_e64 vcc, |v[16:17]|, s[12:13]
	s_mov_b32 s12, 0
	v_ldexp_f64 v[18:19], v[22:23], v3
	v_mov_b32_e32 v3, 0x7ff00000
	s_brev_b32 s13, 8
	v_cndmask_b32_e32 v19, v3, v19, vcc
	v_cndmask_b32_e32 v18, 0, v18, vcc
	v_cmp_lt_f64_e64 vcc, |v[16:17]|, s[12:13]
	v_cndmask_b32_e64 v3, 0, 1, vcc
	v_lshlrev_b32_e32 v3, 8, v3
	v_ldexp_f64 v[16:17], |v[16:17]|, v3
	v_rsq_f64_e32 v[22:23], v[16:17]
	v_add_f64 v[12:13], v[12:13], -v[20:21]
	v_mul_f64 v[12:13], v[12:13], 0.5
	v_mul_f64 v[12:13], v[18:19], v[12:13]
	v_mul_f64 v[18:19], v[16:17], v[22:23]
	v_mul_f64 v[20:21], v[22:23], 0.5
	v_fma_f64 v[22:23], -v[20:21], v[18:19], 0.5
	v_fmac_f64_e32 v[18:19], v[18:19], v[22:23]
	v_fma_f64 v[24:25], -v[18:19], v[18:19], v[16:17]
	v_fmac_f64_e32 v[20:21], v[20:21], v[22:23]
	v_fmac_f64_e32 v[18:19], v[24:25], v[20:21]
	v_fma_f64 v[22:23], -v[18:19], v[18:19], v[16:17]
	v_mov_b32_e32 v3, 0xffffff80
	v_fmac_f64_e32 v[18:19], v[22:23], v[20:21]
	v_cndmask_b32_e32 v3, 0, v3, vcc
	v_ldexp_f64 v[18:19], v[18:19], v3
	v_mov_b32_e32 v3, 0x260
	v_cmp_class_f64_e32 vcc, v[16:17], v3
	v_cndmask_b32_e32 v17, v19, v17, vcc
	v_cndmask_b32_e32 v16, v18, v16, vcc
	v_div_scale_f64 v[18:19], s[12:13], v[16:17], v[16:17], v[12:13]
	v_rcp_f64_e32 v[20:21], v[18:19]
	v_fma_f64 v[22:23], -v[18:19], v[20:21], 1.0
	v_fmac_f64_e32 v[20:21], v[20:21], v[22:23]
	v_fma_f64 v[22:23], -v[18:19], v[20:21], 1.0
	v_fmac_f64_e32 v[20:21], v[20:21], v[22:23]
	v_div_scale_f64 v[22:23], vcc, v[12:13], v[16:17], v[12:13]
	v_mul_f64 v[24:25], v[22:23], v[20:21]
	v_fma_f64 v[18:19], -v[18:19], v[24:25], v[22:23]
	s_nop 1
	v_div_fmas_f64 v[18:19], v[18:19], v[20:21], v[24:25]
	v_div_fixup_f64 v[12:13], v[18:19], v[16:17], v[12:13]
.LBB0_36:
	s_or_b64 exec, exec, s[8:9]
	s_or_b64 exec, exec, s[6:7]
	s_and_saveexec_b64 s[6:7], s[4:5]
	s_xor_b64 s[4:5], exec, s[6:7]
	s_cbranch_execz .LBB0_28
.LBB0_37:
	v_mov_b32_e32 v15, 0
	v_lshlrev_b64 v[14:15], 3, v[14:15]
	v_add_co_u32_e32 v14, vcc, v0, v14
	v_addc_co_u32_e32 v15, vcc, v1, v15, vcc
	v_mov_b32_e32 v5, v2
	flat_store_dwordx2 v[14:15], v[6:7]
	s_or_b64 exec, exec, s[4:5]
	v_cmp_lt_i32_e32 vcc, v5, v4
	s_and_saveexec_b64 s[4:5], vcc
	s_cbranch_execz .LBB0_29
.LBB0_38:
	v_add_u32_e32 v2, s10, v5
	v_mov_b32_e32 v3, 0
	v_lshlrev_b64 v[2:3], 3, v[2:3]
	v_add_co_u32_e32 v2, vcc, v0, v2
	v_addc_co_u32_e32 v3, vcc, v1, v3, vcc
	v_add_u32_e32 v5, 0x100, v5
	flat_store_dwordx2 v[2:3], v[8:9]
	s_or_b64 exec, exec, s[4:5]
	v_cmp_lt_i32_e32 vcc, v5, v4
	s_and_saveexec_b64 s[4:5], vcc
	s_cbranch_execz .LBB0_30
.LBB0_39:
	v_add_u32_e32 v2, s10, v5
	v_mov_b32_e32 v3, 0
	v_lshlrev_b64 v[2:3], 3, v[2:3]
	v_add_co_u32_e32 v2, vcc, v0, v2
	v_addc_co_u32_e32 v3, vcc, v1, v3, vcc
	v_add_u32_e32 v5, 0x100, v5
	flat_store_dwordx2 v[2:3], v[10:11]
	s_or_b64 exec, exec, s[4:5]
	v_cmp_lt_i32_e32 vcc, v5, v4
	s_and_saveexec_b64 s[4:5], vcc
	s_cbranch_execz .LBB0_31
.LBB0_40:
	v_add_u32_e32 v2, s10, v5
	v_mov_b32_e32 v3, 0
	v_lshlrev_b64 v[2:3], 3, v[2:3]
	v_add_co_u32_e32 v0, vcc, v0, v2
	v_addc_co_u32_e32 v1, vcc, v1, v3, vcc
	flat_store_dwordx2 v[0:1], v[12:13]
	s_or_b64 exec, exec, s[4:5]
	s_waitcnt vmcnt(0) lgkmcnt(0)
	s_setpc_b64 s[30:31]
.Lfunc_end0:
	.size	_ZN2at6native25elementwise_kernel_helperILb0EZZZNS0_12_GLOBAL__N_130modified_bessel_i0_kernel_cudaERNS_18TensorIteratorBaseEENKUlvE_clEvENKUlvE_clEvEUldE_NS0_6memory8policies11unroll_baseILi256ESt5arrayIPcLm2EE23TrivialOffsetCalculatorILi1EjESF_NS8_15LoadWithoutCastENS8_16StoreWithoutCastELi4ELi1EEEEEvT0_T1_, .Lfunc_end0-_ZN2at6native25elementwise_kernel_helperILb0EZZZNS0_12_GLOBAL__N_130modified_bessel_i0_kernel_cudaERNS_18TensorIteratorBaseEENKUlvE_clEvENKUlvE_clEvEUldE_NS0_6memory8policies11unroll_baseILi256ESt5arrayIPcLm2EE23TrivialOffsetCalculatorILi1EjESF_NS8_15LoadWithoutCastENS8_16StoreWithoutCastELi4ELi1EEEEEvT0_T1_
                                        ; -- End function
	.section	.AMDGPU.csdata,"",@progbits
; Function info:
; codeLenInByte = 11928
; NumSgprs: 36
; NumVgprs: 32
; NumAgprs: 0
; TotalNumVgprs: 32
; ScratchSize: 0
; MemoryBound: 0
	.text
	.p2align	2                               ; -- Begin function _ZN2at6native25elementwise_kernel_helperILb0EZZZNS0_12_GLOBAL__N_130modified_bessel_i0_kernel_cudaERNS_18TensorIteratorBaseEENKUlvE_clEvENKUlvE_clEvEUldE_NS0_6memory8policies10vectorizedILi4ESt5arrayIPcLm2EELi4EEEEEvT0_T1_
	.type	_ZN2at6native25elementwise_kernel_helperILb0EZZZNS0_12_GLOBAL__N_130modified_bessel_i0_kernel_cudaERNS_18TensorIteratorBaseEENKUlvE_clEvENKUlvE_clEvEUldE_NS0_6memory8policies10vectorizedILi4ESt5arrayIPcLm2EELi4EEEEEvT0_T1_,@function
_ZN2at6native25elementwise_kernel_helperILb0EZZZNS0_12_GLOBAL__N_130modified_bessel_i0_kernel_cudaERNS_18TensorIteratorBaseEENKUlvE_clEvENKUlvE_clEvEUldE_NS0_6memory8policies10vectorizedILi4ESt5arrayIPcLm2EELi4EEEEEvT0_T1_: ; @_ZN2at6native25elementwise_kernel_helperILb0EZZZNS0_12_GLOBAL__N_130modified_bessel_i0_kernel_cudaERNS_18TensorIteratorBaseEENKUlvE_clEvENKUlvE_clEvEUldE_NS0_6memory8policies10vectorizedILi4ESt5arrayIPcLm2EELi4EEEEEvT0_T1_
; %bb.0:
	s_waitcnt vmcnt(0) expcnt(0) lgkmcnt(0)
	s_lshl_b32 s4, s12, 10
	s_ashr_i32 s5, s4, 31
	s_lshl_b64 s[4:5], s[4:5], 3
	v_mov_b32_e32 v4, s5
	v_add_co_u32_e32 v2, vcc, s4, v2
	v_addc_co_u32_e32 v3, vcc, v3, v4, vcc
	v_and_b32_e32 v4, 0x3ff, v31
	v_lshlrev_b32_e32 v14, 5, v4
	v_add_co_u32_e32 v6, vcc, v2, v14
	v_addc_co_u32_e32 v7, vcc, 0, v3, vcc
	flat_load_dwordx4 v[8:11], v[6:7]
	flat_load_dwordx4 v[2:5], v[6:7] offset:16
	s_mov_b32 s6, 0
	s_mov_b32 s7, 0x40200000
                                        ; implicit-def: $vgpr6_vgpr7
	s_waitcnt vmcnt(0) lgkmcnt(0)
	v_cmp_le_f64_e64 s[6:7], |v[8:9]|, s[6:7]
	s_and_saveexec_b64 s[8:9], s[6:7]
	s_xor_b64 s[6:7], exec, s[8:9]
	s_cbranch_execz .LBB1_2
; %bb.1:
	s_mov_b32 s8, 0x2134d0ef
	v_fma_f64 v[6:7], |v[8:9]|, 0.5, -2.0
	v_mov_b32_e32 v12, 0x977da589
	v_mov_b32_e32 v13, 0x3c833362
	s_mov_b32 s9, 0xbc545cb7
	v_fmac_f64_e32 v[12:13], s[8:9], v[6:7]
	v_mov_b32_e32 v16, 0x2134d0ef
	v_mov_b32_e32 v17, 0x3c545cb7
	s_mov_b32 s8, 0x721ebbb4
	v_fmac_f64_e32 v[16:17], v[6:7], v[12:13]
	s_mov_b32 s9, 0xbcb184eb
	v_add_f64 v[16:17], v[16:17], s[8:9]
	s_mov_b32 s8, 0x93f65eba
	v_fma_f64 v[12:13], v[6:7], v[16:17], -v[12:13]
	s_mov_b32 s9, 0x3cdee6d8
	v_add_f64 v[12:13], v[12:13], s[8:9]
	s_mov_b32 s8, 0xc297fbeb
	v_fma_f64 v[16:17], v[6:7], v[12:13], -v[16:17]
	;; [unrolled: 4-line block ×27, first 2 shown]
	s_mov_b32 s9, 0x3fe5a84e
	v_add_f64 v[6:7], v[6:7], s[8:9]
	s_mov_b32 s8, 0x652b82fe
	s_mov_b32 s9, 0x3ff71547
	v_mul_f64 v[16:17], |v[8:9]|, s[8:9]
	s_mov_b32 s8, 0xfefa39ef
	v_rndne_f64_e32 v[16:17], v[16:17]
	s_mov_b32 s9, 0xbfe62e42
	v_fma_f64 v[18:19], v[16:17], s[8:9], |v[8:9]|
	s_mov_b32 s8, 0x3b39803f
	s_mov_b32 s9, 0xbc7abc9e
	v_fmac_f64_e32 v[18:19], s[8:9], v[16:17]
	s_mov_b32 s8, 0x6a5dcb37
	v_mov_b32_e32 v20, 0xfca7ab0c
	v_mov_b32_e32 v21, 0x3e928af3
	s_mov_b32 s9, 0x3e5ade15
	v_fmac_f64_e32 v[20:21], s[8:9], v[18:19]
	v_mov_b32_e32 v22, 0x623fde64
	v_mov_b32_e32 v23, 0x3ec71dee
	v_fmac_f64_e32 v[22:23], v[18:19], v[20:21]
	v_mov_b32_e32 v20, 0x7c89e6b0
	v_mov_b32_e32 v21, 0x3efa0199
	;; [unrolled: 3-line block ×8, first 2 shown]
	v_fmac_f64_e32 v[20:21], v[18:19], v[22:23]
	v_fma_f64 v[20:21], v[18:19], v[20:21], 1.0
	s_mov_b32 s8, 0
	v_fma_f64 v[18:19], v[18:19], v[20:21], 1.0
	v_cvt_i32_f64_e32 v15, v[16:17]
	s_mov_b32 s9, 0x40900000
	v_ldexp_f64 v[16:17], v[18:19], v15
	v_mov_b32_e32 v15, 0x7ff00000
	v_cmp_ngt_f64_e64 vcc, |v[8:9]|, s[8:9]
	v_add_f64 v[6:7], v[6:7], -v[12:13]
	v_cndmask_b32_e32 v17, v15, v17, vcc
	v_cndmask_b32_e32 v16, 0, v16, vcc
	v_mul_f64 v[6:7], v[6:7], 0.5
	v_mul_f64 v[6:7], v[16:17], v[6:7]
.LBB1_2:
	s_andn2_saveexec_b64 s[6:7], s[6:7]
	s_cbranch_execz .LBB1_4
; %bb.3:
	s_mov_b32 s8, 0
	v_and_b32_e32 v7, 0x7fffffff, v9
	v_mov_b32_e32 v6, v8
	s_mov_b32 s9, 0x40400000
	v_div_scale_f64 v[12:13], s[10:11], v[6:7], v[6:7], s[8:9]
	v_rcp_f64_e32 v[16:17], v[12:13]
	v_div_scale_f64 v[6:7], vcc, s[8:9], v[6:7], s[8:9]
	v_mov_b32_e32 v20, 0xfca7ab0c
	v_fma_f64 v[18:19], -v[12:13], v[16:17], 1.0
	v_fmac_f64_e32 v[16:17], v[16:17], v[18:19]
	v_fma_f64 v[18:19], -v[12:13], v[16:17], 1.0
	v_fmac_f64_e32 v[16:17], v[16:17], v[18:19]
	v_mul_f64 v[18:19], v[6:7], v[16:17]
	v_fma_f64 v[6:7], -v[12:13], v[18:19], v[6:7]
	v_div_fmas_f64 v[6:7], v[6:7], v[16:17], v[18:19]
	v_div_fixup_f64 v[6:7], v[6:7], |v[8:9]|, s[8:9]
	s_mov_b32 s8, 0x54ca8b19
	v_add_f64 v[6:7], v[6:7], -2.0
	v_mov_b32_e32 v12, 0x66119130
	v_mov_b32_e32 v13, 0xbc5646da
	s_mov_b32 s9, 0xbc60adb7
	v_fmac_f64_e32 v[12:13], s[8:9], v[6:7]
	v_mov_b32_e32 v16, 0x54ca8b19
	v_mov_b32_e32 v17, 0x3c60adb7
	s_mov_b32 s8, 0x12d98421
	v_fmac_f64_e32 v[16:17], v[6:7], v[12:13]
	s_mov_b32 s9, 0x3c89be18
	v_add_f64 v[16:17], v[16:17], s[8:9]
	s_mov_b32 s8, 0x76041cd
	v_fma_f64 v[12:13], v[6:7], v[16:17], -v[12:13]
	s_mov_b32 s9, 0x3c83f3dd
	v_add_f64 v[12:13], v[12:13], s[8:9]
	s_mov_b32 s8, 0xabd21fe4
	v_fma_f64 v[16:17], v[6:7], v[12:13], -v[16:17]
	;; [unrolled: 4-line block ×22, first 2 shown]
	s_mov_b32 s9, 0x3fe9be62
	v_add_f64 v[6:7], v[6:7], s[8:9]
	s_mov_b32 s8, 0x652b82fe
	s_mov_b32 s9, 0x3ff71547
	v_mul_f64 v[12:13], |v[8:9]|, s[8:9]
	s_mov_b32 s8, 0xfefa39ef
	v_rndne_f64_e32 v[12:13], v[12:13]
	s_mov_b32 s9, 0xbfe62e42
	v_fma_f64 v[18:19], v[12:13], s[8:9], |v[8:9]|
	s_mov_b32 s8, 0x3b39803f
	s_mov_b32 s9, 0xbc7abc9e
	v_fmac_f64_e32 v[18:19], s[8:9], v[12:13]
	s_mov_b32 s8, 0x6a5dcb37
	v_mov_b32_e32 v21, 0x3e928af3
	s_mov_b32 s9, 0x3e5ade15
	v_fmac_f64_e32 v[20:21], s[8:9], v[18:19]
	v_mov_b32_e32 v22, 0x623fde64
	v_mov_b32_e32 v23, 0x3ec71dee
	v_fmac_f64_e32 v[22:23], v[18:19], v[20:21]
	v_mov_b32_e32 v20, 0x7c89e6b0
	v_mov_b32_e32 v21, 0x3efa0199
	;; [unrolled: 3-line block ×8, first 2 shown]
	v_fmac_f64_e32 v[20:21], v[18:19], v[22:23]
	s_mov_b32 s8, 0
	v_fma_f64 v[20:21], v[18:19], v[20:21], 1.0
	s_mov_b32 s9, 0x40900000
	v_fma_f64 v[18:19], v[18:19], v[20:21], 1.0
	v_cvt_i32_f64_e32 v12, v[12:13]
	v_cmp_ngt_f64_e64 vcc, |v[8:9]|, s[8:9]
	s_mov_b32 s8, 0
	v_ldexp_f64 v[12:13], v[18:19], v12
	v_mov_b32_e32 v15, 0x7ff00000
	s_brev_b32 s9, 8
	v_cndmask_b32_e32 v13, v15, v13, vcc
	v_cndmask_b32_e32 v12, 0, v12, vcc
	v_cmp_lt_f64_e64 vcc, |v[8:9]|, s[8:9]
	v_cndmask_b32_e64 v15, 0, 1, vcc
	v_lshlrev_b32_e32 v15, 8, v15
	v_ldexp_f64 v[8:9], |v[8:9]|, v15
	v_rsq_f64_e32 v[18:19], v[8:9]
	v_add_f64 v[6:7], v[6:7], -v[16:17]
	v_mul_f64 v[6:7], v[6:7], 0.5
	v_mul_f64 v[6:7], v[12:13], v[6:7]
	v_mul_f64 v[12:13], v[8:9], v[18:19]
	v_mul_f64 v[16:17], v[18:19], 0.5
	v_fma_f64 v[18:19], -v[16:17], v[12:13], 0.5
	v_fmac_f64_e32 v[12:13], v[12:13], v[18:19]
	v_fma_f64 v[20:21], -v[12:13], v[12:13], v[8:9]
	v_fmac_f64_e32 v[16:17], v[16:17], v[18:19]
	v_fmac_f64_e32 v[12:13], v[20:21], v[16:17]
	v_fma_f64 v[18:19], -v[12:13], v[12:13], v[8:9]
	v_mov_b32_e32 v15, 0xffffff80
	v_fmac_f64_e32 v[12:13], v[18:19], v[16:17]
	v_cndmask_b32_e32 v15, 0, v15, vcc
	v_ldexp_f64 v[12:13], v[12:13], v15
	v_mov_b32_e32 v15, 0x260
	v_cmp_class_f64_e32 vcc, v[8:9], v15
	v_cndmask_b32_e32 v9, v13, v9, vcc
	v_cndmask_b32_e32 v8, v12, v8, vcc
	v_div_scale_f64 v[12:13], s[8:9], v[8:9], v[8:9], v[6:7]
	v_rcp_f64_e32 v[16:17], v[12:13]
	v_fma_f64 v[18:19], -v[12:13], v[16:17], 1.0
	v_fmac_f64_e32 v[16:17], v[16:17], v[18:19]
	v_fma_f64 v[18:19], -v[12:13], v[16:17], 1.0
	v_fmac_f64_e32 v[16:17], v[16:17], v[18:19]
	v_div_scale_f64 v[18:19], vcc, v[6:7], v[8:9], v[6:7]
	v_mul_f64 v[20:21], v[18:19], v[16:17]
	v_fma_f64 v[12:13], -v[12:13], v[20:21], v[18:19]
	s_nop 1
	v_div_fmas_f64 v[12:13], v[12:13], v[16:17], v[20:21]
	v_div_fixup_f64 v[6:7], v[12:13], v[8:9], v[6:7]
.LBB1_4:
	s_or_b64 exec, exec, s[6:7]
	s_mov_b32 s6, 0
	s_mov_b32 s7, 0x40200000
	v_cmp_le_f64_e64 s[6:7], |v[10:11]|, s[6:7]
	s_and_saveexec_b64 s[8:9], s[6:7]
	s_xor_b64 s[6:7], exec, s[8:9]
	s_cbranch_execz .LBB1_6
; %bb.5:
	s_mov_b32 s8, 0x2134d0ef
	v_fma_f64 v[8:9], |v[10:11]|, 0.5, -2.0
	v_mov_b32_e32 v12, 0x977da589
	v_mov_b32_e32 v13, 0x3c833362
	s_mov_b32 s9, 0xbc545cb7
	v_fmac_f64_e32 v[12:13], s[8:9], v[8:9]
	v_mov_b32_e32 v16, 0x2134d0ef
	v_mov_b32_e32 v17, 0x3c545cb7
	s_mov_b32 s8, 0x721ebbb4
	v_fmac_f64_e32 v[16:17], v[8:9], v[12:13]
	s_mov_b32 s9, 0xbcb184eb
	v_add_f64 v[16:17], v[16:17], s[8:9]
	s_mov_b32 s8, 0x93f65eba
	v_fma_f64 v[12:13], v[8:9], v[16:17], -v[12:13]
	s_mov_b32 s9, 0x3cdee6d8
	v_add_f64 v[12:13], v[12:13], s[8:9]
	s_mov_b32 s8, 0xc297fbeb
	v_fma_f64 v[16:17], v[8:9], v[12:13], -v[16:17]
	;; [unrolled: 4-line block ×27, first 2 shown]
	s_mov_b32 s9, 0x3fe5a84e
	v_add_f64 v[8:9], v[8:9], s[8:9]
	s_mov_b32 s8, 0x652b82fe
	s_mov_b32 s9, 0x3ff71547
	v_mul_f64 v[16:17], |v[10:11]|, s[8:9]
	s_mov_b32 s8, 0xfefa39ef
	v_rndne_f64_e32 v[16:17], v[16:17]
	s_mov_b32 s9, 0xbfe62e42
	v_fma_f64 v[18:19], v[16:17], s[8:9], |v[10:11]|
	s_mov_b32 s8, 0x3b39803f
	s_mov_b32 s9, 0xbc7abc9e
	v_fmac_f64_e32 v[18:19], s[8:9], v[16:17]
	s_mov_b32 s8, 0x6a5dcb37
	v_mov_b32_e32 v20, 0xfca7ab0c
	v_mov_b32_e32 v21, 0x3e928af3
	s_mov_b32 s9, 0x3e5ade15
	v_fmac_f64_e32 v[20:21], s[8:9], v[18:19]
	v_mov_b32_e32 v22, 0x623fde64
	v_mov_b32_e32 v23, 0x3ec71dee
	v_fmac_f64_e32 v[22:23], v[18:19], v[20:21]
	v_mov_b32_e32 v20, 0x7c89e6b0
	v_mov_b32_e32 v21, 0x3efa0199
	;; [unrolled: 3-line block ×8, first 2 shown]
	v_fmac_f64_e32 v[20:21], v[18:19], v[22:23]
	v_fma_f64 v[20:21], v[18:19], v[20:21], 1.0
	s_mov_b32 s8, 0
	v_fma_f64 v[18:19], v[18:19], v[20:21], 1.0
	v_cvt_i32_f64_e32 v15, v[16:17]
	s_mov_b32 s9, 0x40900000
	v_ldexp_f64 v[16:17], v[18:19], v15
	v_mov_b32_e32 v15, 0x7ff00000
	v_cmp_ngt_f64_e64 vcc, |v[10:11]|, s[8:9]
	v_add_f64 v[8:9], v[8:9], -v[12:13]
	v_cndmask_b32_e32 v11, v15, v17, vcc
	v_cndmask_b32_e32 v10, 0, v16, vcc
	v_mul_f64 v[8:9], v[8:9], 0.5
	v_mul_f64 v[8:9], v[10:11], v[8:9]
                                        ; implicit-def: $vgpr10_vgpr11
.LBB1_6:
	s_andn2_saveexec_b64 s[6:7], s[6:7]
	s_cbranch_execz .LBB1_8
; %bb.7:
	s_mov_b32 s8, 0
	v_and_b32_e32 v9, 0x7fffffff, v11
	v_mov_b32_e32 v8, v10
	s_mov_b32 s9, 0x40400000
	v_div_scale_f64 v[12:13], s[10:11], v[8:9], v[8:9], s[8:9]
	v_rcp_f64_e32 v[16:17], v[12:13]
	v_div_scale_f64 v[8:9], vcc, s[8:9], v[8:9], s[8:9]
	v_mov_b32_e32 v20, 0xfca7ab0c
	v_fma_f64 v[18:19], -v[12:13], v[16:17], 1.0
	v_fmac_f64_e32 v[16:17], v[16:17], v[18:19]
	v_fma_f64 v[18:19], -v[12:13], v[16:17], 1.0
	v_fmac_f64_e32 v[16:17], v[16:17], v[18:19]
	v_mul_f64 v[18:19], v[8:9], v[16:17]
	v_fma_f64 v[8:9], -v[12:13], v[18:19], v[8:9]
	v_div_fmas_f64 v[8:9], v[8:9], v[16:17], v[18:19]
	v_div_fixup_f64 v[8:9], v[8:9], |v[10:11]|, s[8:9]
	s_mov_b32 s8, 0x54ca8b19
	v_add_f64 v[8:9], v[8:9], -2.0
	v_mov_b32_e32 v12, 0x66119130
	v_mov_b32_e32 v13, 0xbc5646da
	s_mov_b32 s9, 0xbc60adb7
	v_fmac_f64_e32 v[12:13], s[8:9], v[8:9]
	v_mov_b32_e32 v16, 0x54ca8b19
	v_mov_b32_e32 v17, 0x3c60adb7
	s_mov_b32 s8, 0x12d98421
	v_fmac_f64_e32 v[16:17], v[8:9], v[12:13]
	s_mov_b32 s9, 0x3c89be18
	v_add_f64 v[16:17], v[16:17], s[8:9]
	s_mov_b32 s8, 0x76041cd
	v_fma_f64 v[12:13], v[8:9], v[16:17], -v[12:13]
	s_mov_b32 s9, 0x3c83f3dd
	v_add_f64 v[12:13], v[12:13], s[8:9]
	s_mov_b32 s8, 0xabd21fe4
	v_fma_f64 v[16:17], v[8:9], v[12:13], -v[16:17]
	s_mov_b32 s9, 0xbcb4600b
	v_add_f64 v[16:17], v[16:17], s[8:9]
	s_mov_b32 s8, 0xd908de38
	v_fma_f64 v[12:13], v[8:9], v[16:17], -v[12:13]
	s_mov_b32 s9, 0xbcb8aee7
	v_add_f64 v[12:13], v[12:13], s[8:9]
	s_mov_b32 s8, 0xa3eafb1f
	v_fma_f64 v[16:17], v[8:9], v[12:13], -v[16:17]
	s_mov_b32 s9, 0x3cdfee7d
	v_add_f64 v[16:17], v[16:17], s[8:9]
	s_mov_b32 s8, 0x9094e6d7
	v_fma_f64 v[12:13], v[8:9], v[16:17], -v[12:13]
	s_mov_b32 s9, 0x3cf12a91
	v_add_f64 v[12:13], v[12:13], s[8:9]
	s_mov_b32 s8, 0x7e65629a
	v_fma_f64 v[16:17], v[8:9], v[12:13], -v[16:17]
	s_mov_b32 s9, 0xbd0583fe
	v_add_f64 v[16:17], v[16:17], s[8:9]
	s_mov_b32 s8, 0xcf68bb32
	v_fma_f64 v[12:13], v[8:9], v[16:17], -v[12:13]
	s_mov_b32 s9, 0xbd275d99
	v_add_f64 v[12:13], v[12:13], s[8:9]
	s_mov_b32 s8, 0xd5fc545
	v_fma_f64 v[16:17], v[8:9], v[12:13], -v[16:17]
	s_mov_b32 s9, 0x3d1156ff
	v_add_f64 v[16:17], v[16:17], s[8:9]
	s_mov_b32 s8, 0x6b83c073
	v_fma_f64 v[12:13], v[8:9], v[16:17], -v[12:13]
	s_mov_b32 s9, 0x3d5b1c8c
	v_add_f64 v[12:13], v[12:13], s[8:9]
	s_mov_b32 s8, 0xfa268cec
	v_fma_f64 v[16:17], v[8:9], v[12:13], -v[16:17]
	s_mov_b32 s9, 0x3d694347
	v_add_f64 v[16:17], v[16:17], s[8:9]
	s_mov_b32 s8, 0x3178d66
	v_fma_f64 v[12:13], v[8:9], v[16:17], -v[12:13]
	s_mov_b32 s9, 0xbd7f9043
	v_add_f64 v[12:13], v[12:13], s[8:9]
	s_mov_b32 s8, 0x357e7bf2
	v_fma_f64 v[16:17], v[8:9], v[12:13], -v[16:17]
	s_mov_b32 s9, 0xbdad0fd7
	v_add_f64 v[16:17], v[16:17], s[8:9]
	s_mov_b32 s8, 0x8397425
	v_fma_f64 v[12:13], v[8:9], v[16:17], -v[12:13]
	s_mov_b32 s9, 0xbdc1511d
	v_add_f64 v[12:13], v[12:13], s[8:9]
	s_mov_b32 s8, 0xabe8004f
	v_fma_f64 v[16:17], v[8:9], v[12:13], -v[16:17]
	s_mov_b32 s9, 0x3daa24fe
	v_add_f64 v[16:17], v[16:17], s[8:9]
	s_mov_b32 s8, 0xc0f46f75
	v_fma_f64 v[12:13], v[8:9], v[16:17], -v[12:13]
	s_mov_b32 s9, 0x3e00f9cc
	v_add_f64 v[12:13], v[12:13], s[8:9]
	s_mov_b32 s8, 0xa9225b87
	v_fma_f64 v[16:17], v[8:9], v[12:13], -v[16:17]
	s_mov_b32 s9, 0x3e2d2c64
	v_add_f64 v[16:17], v[16:17], s[8:9]
	s_mov_b32 s8, 0x80d6d56d
	v_fma_f64 v[12:13], v[8:9], v[16:17], -v[12:13]
	s_mov_b32 s9, 0x3e585692
	v_add_f64 v[12:13], v[12:13], s[8:9]
	s_mov_b32 s8, 0xd9cd616e
	v_fma_f64 v[16:17], v[8:9], v[12:13], -v[16:17]
	s_mov_b32 s9, 0x3e8b8007
	v_add_f64 v[16:17], v[16:17], s[8:9]
	s_mov_b32 s8, 0xc101c586
	v_fma_f64 v[12:13], v[8:9], v[16:17], -v[12:13]
	s_mov_b32 s9, 0x3ec8412b
	v_add_f64 v[12:13], v[12:13], s[8:9]
	s_mov_b32 s8, 0x78999e52
	v_fma_f64 v[16:17], v[8:9], v[12:13], -v[16:17]
	s_mov_b32 s9, 0x3f120fa3
	v_add_f64 v[16:17], v[16:17], s[8:9]
	s_mov_b32 s8, 0xa2e59049
	v_fma_f64 v[12:13], v[8:9], v[16:17], -v[12:13]
	s_mov_b32 s9, 0x3f6b998c
	v_add_f64 v[12:13], v[12:13], s[8:9]
	s_mov_b32 s8, 0xaca809cb
	v_fma_f64 v[8:9], v[8:9], v[12:13], -v[16:17]
	s_mov_b32 s9, 0x3fe9be62
	v_add_f64 v[8:9], v[8:9], s[8:9]
	s_mov_b32 s8, 0x652b82fe
	s_mov_b32 s9, 0x3ff71547
	v_mul_f64 v[12:13], |v[10:11]|, s[8:9]
	s_mov_b32 s8, 0xfefa39ef
	v_rndne_f64_e32 v[12:13], v[12:13]
	s_mov_b32 s9, 0xbfe62e42
	v_fma_f64 v[18:19], v[12:13], s[8:9], |v[10:11]|
	s_mov_b32 s8, 0x3b39803f
	s_mov_b32 s9, 0xbc7abc9e
	v_fmac_f64_e32 v[18:19], s[8:9], v[12:13]
	s_mov_b32 s8, 0x6a5dcb37
	v_mov_b32_e32 v21, 0x3e928af3
	s_mov_b32 s9, 0x3e5ade15
	v_fmac_f64_e32 v[20:21], s[8:9], v[18:19]
	v_mov_b32_e32 v22, 0x623fde64
	v_mov_b32_e32 v23, 0x3ec71dee
	v_fmac_f64_e32 v[22:23], v[18:19], v[20:21]
	v_mov_b32_e32 v20, 0x7c89e6b0
	v_mov_b32_e32 v21, 0x3efa0199
	;; [unrolled: 3-line block ×8, first 2 shown]
	v_fmac_f64_e32 v[20:21], v[18:19], v[22:23]
	s_mov_b32 s8, 0
	v_fma_f64 v[20:21], v[18:19], v[20:21], 1.0
	s_mov_b32 s9, 0x40900000
	v_fma_f64 v[18:19], v[18:19], v[20:21], 1.0
	v_cvt_i32_f64_e32 v12, v[12:13]
	v_cmp_ngt_f64_e64 vcc, |v[10:11]|, s[8:9]
	s_mov_b32 s8, 0
	v_ldexp_f64 v[12:13], v[18:19], v12
	v_mov_b32_e32 v15, 0x7ff00000
	s_brev_b32 s9, 8
	v_cndmask_b32_e32 v13, v15, v13, vcc
	v_cndmask_b32_e32 v12, 0, v12, vcc
	v_cmp_lt_f64_e64 vcc, |v[10:11]|, s[8:9]
	v_cndmask_b32_e64 v15, 0, 1, vcc
	v_lshlrev_b32_e32 v15, 8, v15
	v_ldexp_f64 v[10:11], |v[10:11]|, v15
	v_rsq_f64_e32 v[18:19], v[10:11]
	v_add_f64 v[8:9], v[8:9], -v[16:17]
	v_mul_f64 v[8:9], v[8:9], 0.5
	v_mul_f64 v[8:9], v[12:13], v[8:9]
	v_mul_f64 v[12:13], v[10:11], v[18:19]
	v_mul_f64 v[16:17], v[18:19], 0.5
	v_fma_f64 v[18:19], -v[16:17], v[12:13], 0.5
	v_fmac_f64_e32 v[12:13], v[12:13], v[18:19]
	v_fma_f64 v[20:21], -v[12:13], v[12:13], v[10:11]
	v_fmac_f64_e32 v[16:17], v[16:17], v[18:19]
	v_fmac_f64_e32 v[12:13], v[20:21], v[16:17]
	v_fma_f64 v[18:19], -v[12:13], v[12:13], v[10:11]
	v_mov_b32_e32 v15, 0xffffff80
	v_fmac_f64_e32 v[12:13], v[18:19], v[16:17]
	v_cndmask_b32_e32 v15, 0, v15, vcc
	v_ldexp_f64 v[12:13], v[12:13], v15
	v_mov_b32_e32 v15, 0x260
	v_cmp_class_f64_e32 vcc, v[10:11], v15
	v_cndmask_b32_e32 v11, v13, v11, vcc
	v_cndmask_b32_e32 v10, v12, v10, vcc
	v_div_scale_f64 v[12:13], s[8:9], v[10:11], v[10:11], v[8:9]
	v_rcp_f64_e32 v[16:17], v[12:13]
	v_fma_f64 v[18:19], -v[12:13], v[16:17], 1.0
	v_fmac_f64_e32 v[16:17], v[16:17], v[18:19]
	v_fma_f64 v[18:19], -v[12:13], v[16:17], 1.0
	v_fmac_f64_e32 v[16:17], v[16:17], v[18:19]
	v_div_scale_f64 v[18:19], vcc, v[8:9], v[10:11], v[8:9]
	v_mul_f64 v[20:21], v[18:19], v[16:17]
	v_fma_f64 v[12:13], -v[12:13], v[20:21], v[18:19]
	s_nop 1
	v_div_fmas_f64 v[12:13], v[12:13], v[16:17], v[20:21]
	v_div_fixup_f64 v[8:9], v[12:13], v[10:11], v[8:9]
.LBB1_8:
	s_or_b64 exec, exec, s[6:7]
	s_mov_b32 s6, 0
	s_mov_b32 s7, 0x40200000
	v_cmp_le_f64_e64 s[6:7], |v[2:3]|, s[6:7]
                                        ; implicit-def: $vgpr10_vgpr11
	s_and_saveexec_b64 s[8:9], s[6:7]
	s_xor_b64 s[6:7], exec, s[8:9]
	s_cbranch_execz .LBB1_10
; %bb.9:
	s_mov_b32 s8, 0x2134d0ef
	v_fma_f64 v[10:11], |v[2:3]|, 0.5, -2.0
	v_mov_b32_e32 v12, 0x977da589
	v_mov_b32_e32 v13, 0x3c833362
	s_mov_b32 s9, 0xbc545cb7
	v_fmac_f64_e32 v[12:13], s[8:9], v[10:11]
	v_mov_b32_e32 v16, 0x2134d0ef
	v_mov_b32_e32 v17, 0x3c545cb7
	s_mov_b32 s8, 0x721ebbb4
	v_fmac_f64_e32 v[16:17], v[10:11], v[12:13]
	s_mov_b32 s9, 0xbcb184eb
	v_add_f64 v[16:17], v[16:17], s[8:9]
	s_mov_b32 s8, 0x93f65eba
	v_fma_f64 v[12:13], v[10:11], v[16:17], -v[12:13]
	s_mov_b32 s9, 0x3cdee6d8
	v_add_f64 v[12:13], v[12:13], s[8:9]
	s_mov_b32 s8, 0xc297fbeb
	v_fma_f64 v[16:17], v[10:11], v[12:13], -v[16:17]
	s_mov_b32 s9, 0xbd0a5022
	v_add_f64 v[16:17], v[16:17], s[8:9]
	s_mov_b32 s8, 0x4b262627
	v_fma_f64 v[12:13], v[10:11], v[16:17], -v[12:13]
	s_mov_b32 s9, 0x3d359b46
	v_add_f64 v[12:13], v[12:13], s[8:9]
	s_mov_b32 s8, 0x62ee1af0
	v_fma_f64 v[16:17], v[10:11], v[12:13], -v[16:17]
	s_mov_b32 s9, 0xbd61164c
	v_add_f64 v[16:17], v[16:17], s[8:9]
	s_mov_b32 s8, 0xe19bd324
	v_fma_f64 v[12:13], v[10:11], v[16:17], -v[12:13]
	s_mov_b32 s9, 0x3d89fe2f
	v_add_f64 v[12:13], v[12:13], s[8:9]
	s_mov_b32 s8, 0x7a946abc
	v_fma_f64 v[16:17], v[10:11], v[12:13], -v[16:17]
	s_mov_b32 s9, 0xbdb2fc95
	v_add_f64 v[16:17], v[16:17], s[8:9]
	s_mov_b32 s8, 0xcc743c10
	v_fma_f64 v[12:13], v[10:11], v[16:17], -v[12:13]
	s_mov_b32 s9, 0x3dda98be
	v_add_f64 v[12:13], v[12:13], s[8:9]
	s_mov_b32 s8, 0x13ae9556
	v_fma_f64 v[16:17], v[10:11], v[12:13], -v[16:17]
	s_mov_b32 s9, 0xbe01d4fe
	v_add_f64 v[16:17], v[16:17], s[8:9]
	s_mov_b32 s8, 0xa454cb34
	v_fma_f64 v[12:13], v[10:11], v[16:17], -v[12:13]
	s_mov_b32 s9, 0x3e26d903
	v_add_f64 v[12:13], v[12:13], s[8:9]
	s_mov_b32 s8, 0x8c0b30ab
	v_fma_f64 v[16:17], v[10:11], v[12:13], -v[16:17]
	s_mov_b32 s9, 0xbe4beaf6
	v_add_f64 v[16:17], v[16:17], s[8:9]
	s_mov_b32 s8, 0x9d4d6435
	v_fma_f64 v[12:13], v[10:11], v[16:17], -v[12:13]
	s_mov_b32 s9, 0x3e703b76
	v_add_f64 v[12:13], v[12:13], s[8:9]
	s_mov_b32 s8, 0x8f227f8d
	v_fma_f64 v[16:17], v[10:11], v[12:13], -v[16:17]
	s_mov_b32 s9, 0xbe91ec63
	v_add_f64 v[16:17], v[16:17], s[8:9]
	s_mov_b32 s8, 0x978cf4ac
	v_fma_f64 v[12:13], v[10:11], v[16:17], -v[12:13]
	s_mov_b32 s9, 0x3eb2bf24
	v_add_f64 v[12:13], v[12:13], s[8:9]
	s_mov_b32 s8, 0xcba56427
	v_fma_f64 v[16:17], v[10:11], v[12:13], -v[16:17]
	s_mov_b32 s9, 0xbed2866f
	v_add_f64 v[16:17], v[16:17], s[8:9]
	s_mov_b32 s8, 0xbe9a2859
	v_fma_f64 v[12:13], v[10:11], v[16:17], -v[12:13]
	s_mov_b32 s9, 0x3ef13f58
	v_add_f64 v[12:13], v[12:13], s[8:9]
	s_mov_b32 s8, 0x59c41d5a
	v_fma_f64 v[16:17], v[10:11], v[12:13], -v[16:17]
	s_mov_b32 s9, 0xbf0e2b26
	v_add_f64 v[16:17], v[16:17], s[8:9]
	s_mov_b32 s8, 0x74107cab
	v_fma_f64 v[12:13], v[10:11], v[16:17], -v[12:13]
	s_mov_b32 s9, 0x3f28b51b
	v_add_f64 v[12:13], v[12:13], s[8:9]
	s_mov_b32 s8, 0x1f15eb52
	v_fma_f64 v[16:17], v[10:11], v[12:13], -v[16:17]
	s_mov_b32 s9, 0xbf42e2fd
	v_add_f64 v[16:17], v[16:17], s[8:9]
	s_mov_b32 s8, 0x8a12100e
	v_fma_f64 v[12:13], v[10:11], v[16:17], -v[12:13]
	s_mov_b32 s9, 0x3f5adc75
	v_add_f64 v[12:13], v[12:13], s[8:9]
	s_mov_b32 s8, 0x201aa849
	v_fma_f64 v[16:17], v[10:11], v[12:13], -v[16:17]
	s_mov_b32 s9, 0xbf71b65e
	v_add_f64 v[16:17], v[16:17], s[8:9]
	s_mov_b32 s8, 0xf3dde3dd
	v_fma_f64 v[12:13], v[10:11], v[16:17], -v[12:13]
	s_mov_b32 s9, 0x3f859961
	v_add_f64 v[12:13], v[12:13], s[8:9]
	s_mov_b32 s8, 0xf121b6f0
	v_fma_f64 v[16:17], v[10:11], v[12:13], -v[16:17]
	s_mov_b32 s9, 0xbf984e9e
	v_add_f64 v[16:17], v[16:17], s[8:9]
	s_mov_b32 s8, 0xcea8a32d
	v_fma_f64 v[12:13], v[10:11], v[16:17], -v[12:13]
	s_mov_b32 s9, 0x3fa93e8a
	v_add_f64 v[12:13], v[12:13], s[8:9]
	s_mov_b32 s8, 0x342d06ea
	v_fma_f64 v[16:17], v[10:11], v[12:13], -v[16:17]
	s_mov_b32 s9, 0xbfb84b70
	v_add_f64 v[16:17], v[16:17], s[8:9]
	s_mov_b32 s8, 0x77ac88c0
	v_fma_f64 v[12:13], v[10:11], v[16:17], -v[12:13]
	s_mov_b32 s9, 0x3fc5f7ac
	v_add_f64 v[12:13], v[12:13], s[8:9]
	s_mov_b32 s8, 0xc057cd8d
	v_fma_f64 v[16:17], v[10:11], v[12:13], -v[16:17]
	s_mov_b32 s9, 0xbfd37feb
	v_add_f64 v[16:17], v[16:17], s[8:9]
	s_mov_b32 s8, 0x9035a22a
	v_fma_f64 v[10:11], v[10:11], v[16:17], -v[12:13]
	s_mov_b32 s9, 0x3fe5a84e
	v_add_f64 v[10:11], v[10:11], s[8:9]
	s_mov_b32 s8, 0x652b82fe
	s_mov_b32 s9, 0x3ff71547
	v_mul_f64 v[16:17], |v[2:3]|, s[8:9]
	s_mov_b32 s8, 0xfefa39ef
	v_rndne_f64_e32 v[16:17], v[16:17]
	s_mov_b32 s9, 0xbfe62e42
	v_fma_f64 v[18:19], v[16:17], s[8:9], |v[2:3]|
	s_mov_b32 s8, 0x3b39803f
	s_mov_b32 s9, 0xbc7abc9e
	v_fmac_f64_e32 v[18:19], s[8:9], v[16:17]
	s_mov_b32 s8, 0x6a5dcb37
	v_mov_b32_e32 v20, 0xfca7ab0c
	v_mov_b32_e32 v21, 0x3e928af3
	s_mov_b32 s9, 0x3e5ade15
	v_fmac_f64_e32 v[20:21], s[8:9], v[18:19]
	v_mov_b32_e32 v22, 0x623fde64
	v_mov_b32_e32 v23, 0x3ec71dee
	v_fmac_f64_e32 v[22:23], v[18:19], v[20:21]
	v_mov_b32_e32 v20, 0x7c89e6b0
	v_mov_b32_e32 v21, 0x3efa0199
	;; [unrolled: 3-line block ×8, first 2 shown]
	v_fmac_f64_e32 v[20:21], v[18:19], v[22:23]
	v_fma_f64 v[20:21], v[18:19], v[20:21], 1.0
	s_mov_b32 s8, 0
	v_fma_f64 v[18:19], v[18:19], v[20:21], 1.0
	v_cvt_i32_f64_e32 v15, v[16:17]
	s_mov_b32 s9, 0x40900000
	v_ldexp_f64 v[16:17], v[18:19], v15
	v_mov_b32_e32 v15, 0x7ff00000
	v_cmp_ngt_f64_e64 vcc, |v[2:3]|, s[8:9]
	v_add_f64 v[10:11], v[10:11], -v[12:13]
	v_cndmask_b32_e32 v17, v15, v17, vcc
	v_cndmask_b32_e32 v16, 0, v16, vcc
	v_mul_f64 v[10:11], v[10:11], 0.5
	v_mul_f64 v[10:11], v[16:17], v[10:11]
.LBB1_10:
	s_andn2_saveexec_b64 s[6:7], s[6:7]
	s_cbranch_execz .LBB1_12
; %bb.11:
	s_mov_b32 s8, 0
	v_and_b32_e32 v11, 0x7fffffff, v3
	v_mov_b32_e32 v10, v2
	s_mov_b32 s9, 0x40400000
	v_div_scale_f64 v[12:13], s[10:11], v[10:11], v[10:11], s[8:9]
	v_rcp_f64_e32 v[16:17], v[12:13]
	v_div_scale_f64 v[10:11], vcc, s[8:9], v[10:11], s[8:9]
	v_mov_b32_e32 v20, 0xfca7ab0c
	v_fma_f64 v[18:19], -v[12:13], v[16:17], 1.0
	v_fmac_f64_e32 v[16:17], v[16:17], v[18:19]
	v_fma_f64 v[18:19], -v[12:13], v[16:17], 1.0
	v_fmac_f64_e32 v[16:17], v[16:17], v[18:19]
	v_mul_f64 v[18:19], v[10:11], v[16:17]
	v_fma_f64 v[10:11], -v[12:13], v[18:19], v[10:11]
	v_div_fmas_f64 v[10:11], v[10:11], v[16:17], v[18:19]
	v_div_fixup_f64 v[10:11], v[10:11], |v[2:3]|, s[8:9]
	s_mov_b32 s8, 0x54ca8b19
	v_add_f64 v[10:11], v[10:11], -2.0
	v_mov_b32_e32 v12, 0x66119130
	v_mov_b32_e32 v13, 0xbc5646da
	s_mov_b32 s9, 0xbc60adb7
	v_fmac_f64_e32 v[12:13], s[8:9], v[10:11]
	v_mov_b32_e32 v16, 0x54ca8b19
	v_mov_b32_e32 v17, 0x3c60adb7
	s_mov_b32 s8, 0x12d98421
	v_fmac_f64_e32 v[16:17], v[10:11], v[12:13]
	s_mov_b32 s9, 0x3c89be18
	v_add_f64 v[16:17], v[16:17], s[8:9]
	s_mov_b32 s8, 0x76041cd
	v_fma_f64 v[12:13], v[10:11], v[16:17], -v[12:13]
	s_mov_b32 s9, 0x3c83f3dd
	v_add_f64 v[12:13], v[12:13], s[8:9]
	s_mov_b32 s8, 0xabd21fe4
	v_fma_f64 v[16:17], v[10:11], v[12:13], -v[16:17]
	s_mov_b32 s9, 0xbcb4600b
	v_add_f64 v[16:17], v[16:17], s[8:9]
	s_mov_b32 s8, 0xd908de38
	v_fma_f64 v[12:13], v[10:11], v[16:17], -v[12:13]
	s_mov_b32 s9, 0xbcb8aee7
	v_add_f64 v[12:13], v[12:13], s[8:9]
	s_mov_b32 s8, 0xa3eafb1f
	v_fma_f64 v[16:17], v[10:11], v[12:13], -v[16:17]
	s_mov_b32 s9, 0x3cdfee7d
	v_add_f64 v[16:17], v[16:17], s[8:9]
	s_mov_b32 s8, 0x9094e6d7
	v_fma_f64 v[12:13], v[10:11], v[16:17], -v[12:13]
	s_mov_b32 s9, 0x3cf12a91
	v_add_f64 v[12:13], v[12:13], s[8:9]
	s_mov_b32 s8, 0x7e65629a
	v_fma_f64 v[16:17], v[10:11], v[12:13], -v[16:17]
	s_mov_b32 s9, 0xbd0583fe
	v_add_f64 v[16:17], v[16:17], s[8:9]
	s_mov_b32 s8, 0xcf68bb32
	v_fma_f64 v[12:13], v[10:11], v[16:17], -v[12:13]
	s_mov_b32 s9, 0xbd275d99
	v_add_f64 v[12:13], v[12:13], s[8:9]
	s_mov_b32 s8, 0xd5fc545
	v_fma_f64 v[16:17], v[10:11], v[12:13], -v[16:17]
	s_mov_b32 s9, 0x3d1156ff
	v_add_f64 v[16:17], v[16:17], s[8:9]
	s_mov_b32 s8, 0x6b83c073
	v_fma_f64 v[12:13], v[10:11], v[16:17], -v[12:13]
	s_mov_b32 s9, 0x3d5b1c8c
	v_add_f64 v[12:13], v[12:13], s[8:9]
	s_mov_b32 s8, 0xfa268cec
	v_fma_f64 v[16:17], v[10:11], v[12:13], -v[16:17]
	s_mov_b32 s9, 0x3d694347
	v_add_f64 v[16:17], v[16:17], s[8:9]
	s_mov_b32 s8, 0x3178d66
	v_fma_f64 v[12:13], v[10:11], v[16:17], -v[12:13]
	s_mov_b32 s9, 0xbd7f9043
	v_add_f64 v[12:13], v[12:13], s[8:9]
	s_mov_b32 s8, 0x357e7bf2
	v_fma_f64 v[16:17], v[10:11], v[12:13], -v[16:17]
	s_mov_b32 s9, 0xbdad0fd7
	v_add_f64 v[16:17], v[16:17], s[8:9]
	s_mov_b32 s8, 0x8397425
	v_fma_f64 v[12:13], v[10:11], v[16:17], -v[12:13]
	s_mov_b32 s9, 0xbdc1511d
	v_add_f64 v[12:13], v[12:13], s[8:9]
	s_mov_b32 s8, 0xabe8004f
	v_fma_f64 v[16:17], v[10:11], v[12:13], -v[16:17]
	s_mov_b32 s9, 0x3daa24fe
	v_add_f64 v[16:17], v[16:17], s[8:9]
	s_mov_b32 s8, 0xc0f46f75
	v_fma_f64 v[12:13], v[10:11], v[16:17], -v[12:13]
	s_mov_b32 s9, 0x3e00f9cc
	v_add_f64 v[12:13], v[12:13], s[8:9]
	s_mov_b32 s8, 0xa9225b87
	v_fma_f64 v[16:17], v[10:11], v[12:13], -v[16:17]
	s_mov_b32 s9, 0x3e2d2c64
	v_add_f64 v[16:17], v[16:17], s[8:9]
	s_mov_b32 s8, 0x80d6d56d
	v_fma_f64 v[12:13], v[10:11], v[16:17], -v[12:13]
	s_mov_b32 s9, 0x3e585692
	v_add_f64 v[12:13], v[12:13], s[8:9]
	s_mov_b32 s8, 0xd9cd616e
	v_fma_f64 v[16:17], v[10:11], v[12:13], -v[16:17]
	s_mov_b32 s9, 0x3e8b8007
	v_add_f64 v[16:17], v[16:17], s[8:9]
	s_mov_b32 s8, 0xc101c586
	v_fma_f64 v[12:13], v[10:11], v[16:17], -v[12:13]
	s_mov_b32 s9, 0x3ec8412b
	v_add_f64 v[12:13], v[12:13], s[8:9]
	s_mov_b32 s8, 0x78999e52
	v_fma_f64 v[16:17], v[10:11], v[12:13], -v[16:17]
	s_mov_b32 s9, 0x3f120fa3
	v_add_f64 v[16:17], v[16:17], s[8:9]
	s_mov_b32 s8, 0xa2e59049
	v_fma_f64 v[12:13], v[10:11], v[16:17], -v[12:13]
	s_mov_b32 s9, 0x3f6b998c
	v_add_f64 v[12:13], v[12:13], s[8:9]
	s_mov_b32 s8, 0xaca809cb
	v_fma_f64 v[10:11], v[10:11], v[12:13], -v[16:17]
	s_mov_b32 s9, 0x3fe9be62
	v_add_f64 v[10:11], v[10:11], s[8:9]
	s_mov_b32 s8, 0x652b82fe
	s_mov_b32 s9, 0x3ff71547
	v_mul_f64 v[12:13], |v[2:3]|, s[8:9]
	s_mov_b32 s8, 0xfefa39ef
	v_rndne_f64_e32 v[12:13], v[12:13]
	s_mov_b32 s9, 0xbfe62e42
	v_fma_f64 v[18:19], v[12:13], s[8:9], |v[2:3]|
	s_mov_b32 s8, 0x3b39803f
	s_mov_b32 s9, 0xbc7abc9e
	v_fmac_f64_e32 v[18:19], s[8:9], v[12:13]
	s_mov_b32 s8, 0x6a5dcb37
	v_mov_b32_e32 v21, 0x3e928af3
	s_mov_b32 s9, 0x3e5ade15
	v_fmac_f64_e32 v[20:21], s[8:9], v[18:19]
	v_mov_b32_e32 v22, 0x623fde64
	v_mov_b32_e32 v23, 0x3ec71dee
	v_fmac_f64_e32 v[22:23], v[18:19], v[20:21]
	v_mov_b32_e32 v20, 0x7c89e6b0
	v_mov_b32_e32 v21, 0x3efa0199
	v_fmac_f64_e32 v[20:21], v[18:19], v[22:23]
	v_mov_b32_e32 v22, 0x14761f6e
	v_mov_b32_e32 v23, 0x3f2a01a0
	v_fmac_f64_e32 v[22:23], v[18:19], v[20:21]
	v_mov_b32_e32 v20, 0x1852b7b0
	v_mov_b32_e32 v21, 0x3f56c16c
	v_fmac_f64_e32 v[20:21], v[18:19], v[22:23]
	v_mov_b32_e32 v22, 0x11122322
	v_mov_b32_e32 v23, 0x3f811111
	v_fmac_f64_e32 v[22:23], v[18:19], v[20:21]
	v_mov_b32_e32 v20, 0x555502a1
	v_mov_b32_e32 v21, 0x3fa55555
	v_fmac_f64_e32 v[20:21], v[18:19], v[22:23]
	v_mov_b32_e32 v22, 0x55555511
	v_mov_b32_e32 v23, 0x3fc55555
	v_fmac_f64_e32 v[22:23], v[18:19], v[20:21]
	v_mov_b32_e32 v20, 11
	v_mov_b32_e32 v21, 0x3fe00000
	v_fmac_f64_e32 v[20:21], v[18:19], v[22:23]
	s_mov_b32 s8, 0
	v_fma_f64 v[20:21], v[18:19], v[20:21], 1.0
	s_mov_b32 s9, 0x40900000
	v_fma_f64 v[18:19], v[18:19], v[20:21], 1.0
	v_cvt_i32_f64_e32 v12, v[12:13]
	v_cmp_ngt_f64_e64 vcc, |v[2:3]|, s[8:9]
	s_mov_b32 s8, 0
	v_ldexp_f64 v[12:13], v[18:19], v12
	v_mov_b32_e32 v15, 0x7ff00000
	s_brev_b32 s9, 8
	v_cndmask_b32_e32 v13, v15, v13, vcc
	v_cndmask_b32_e32 v12, 0, v12, vcc
	v_cmp_lt_f64_e64 vcc, |v[2:3]|, s[8:9]
	v_cndmask_b32_e64 v15, 0, 1, vcc
	v_lshlrev_b32_e32 v15, 8, v15
	v_ldexp_f64 v[2:3], |v[2:3]|, v15
	v_rsq_f64_e32 v[18:19], v[2:3]
	v_add_f64 v[10:11], v[10:11], -v[16:17]
	v_mul_f64 v[10:11], v[10:11], 0.5
	v_mul_f64 v[10:11], v[12:13], v[10:11]
	v_mul_f64 v[12:13], v[2:3], v[18:19]
	v_mul_f64 v[16:17], v[18:19], 0.5
	v_fma_f64 v[18:19], -v[16:17], v[12:13], 0.5
	v_fmac_f64_e32 v[12:13], v[12:13], v[18:19]
	v_fma_f64 v[20:21], -v[12:13], v[12:13], v[2:3]
	v_fmac_f64_e32 v[16:17], v[16:17], v[18:19]
	v_fmac_f64_e32 v[12:13], v[20:21], v[16:17]
	v_fma_f64 v[18:19], -v[12:13], v[12:13], v[2:3]
	v_mov_b32_e32 v15, 0xffffff80
	v_fmac_f64_e32 v[12:13], v[18:19], v[16:17]
	v_cndmask_b32_e32 v15, 0, v15, vcc
	v_ldexp_f64 v[12:13], v[12:13], v15
	v_mov_b32_e32 v15, 0x260
	v_cmp_class_f64_e32 vcc, v[2:3], v15
	v_cndmask_b32_e32 v3, v13, v3, vcc
	v_cndmask_b32_e32 v2, v12, v2, vcc
	v_div_scale_f64 v[12:13], s[8:9], v[2:3], v[2:3], v[10:11]
	v_rcp_f64_e32 v[16:17], v[12:13]
	v_fma_f64 v[18:19], -v[12:13], v[16:17], 1.0
	v_fmac_f64_e32 v[16:17], v[16:17], v[18:19]
	v_fma_f64 v[18:19], -v[12:13], v[16:17], 1.0
	v_fmac_f64_e32 v[16:17], v[16:17], v[18:19]
	v_div_scale_f64 v[18:19], vcc, v[10:11], v[2:3], v[10:11]
	v_mul_f64 v[20:21], v[18:19], v[16:17]
	v_fma_f64 v[12:13], -v[12:13], v[20:21], v[18:19]
	s_nop 1
	v_div_fmas_f64 v[12:13], v[12:13], v[16:17], v[20:21]
	v_div_fixup_f64 v[10:11], v[12:13], v[2:3], v[10:11]
.LBB1_12:
	s_or_b64 exec, exec, s[6:7]
	s_mov_b32 s6, 0
	s_mov_b32 s7, 0x40200000
	v_cmp_le_f64_e64 s[6:7], |v[4:5]|, s[6:7]
	s_and_saveexec_b64 s[8:9], s[6:7]
	s_xor_b64 s[6:7], exec, s[8:9]
	s_cbranch_execz .LBB1_14
; %bb.13:
	s_mov_b32 s8, 0x2134d0ef
	v_fma_f64 v[2:3], |v[4:5]|, 0.5, -2.0
	v_mov_b32_e32 v12, 0x977da589
	v_mov_b32_e32 v13, 0x3c833362
	s_mov_b32 s9, 0xbc545cb7
	v_fmac_f64_e32 v[12:13], s[8:9], v[2:3]
	v_mov_b32_e32 v16, 0x2134d0ef
	v_mov_b32_e32 v17, 0x3c545cb7
	s_mov_b32 s8, 0x721ebbb4
	v_fmac_f64_e32 v[16:17], v[2:3], v[12:13]
	s_mov_b32 s9, 0xbcb184eb
	v_add_f64 v[16:17], v[16:17], s[8:9]
	s_mov_b32 s8, 0x93f65eba
	v_fma_f64 v[12:13], v[2:3], v[16:17], -v[12:13]
	s_mov_b32 s9, 0x3cdee6d8
	v_add_f64 v[12:13], v[12:13], s[8:9]
	s_mov_b32 s8, 0xc297fbeb
	v_fma_f64 v[16:17], v[2:3], v[12:13], -v[16:17]
	;; [unrolled: 4-line block ×27, first 2 shown]
	s_mov_b32 s9, 0x3fe5a84e
	v_add_f64 v[2:3], v[2:3], s[8:9]
	s_mov_b32 s8, 0x652b82fe
	s_mov_b32 s9, 0x3ff71547
	v_mul_f64 v[16:17], |v[4:5]|, s[8:9]
	s_mov_b32 s8, 0xfefa39ef
	v_rndne_f64_e32 v[16:17], v[16:17]
	s_mov_b32 s9, 0xbfe62e42
	v_fma_f64 v[18:19], v[16:17], s[8:9], |v[4:5]|
	s_mov_b32 s8, 0x3b39803f
	s_mov_b32 s9, 0xbc7abc9e
	v_fmac_f64_e32 v[18:19], s[8:9], v[16:17]
	s_mov_b32 s8, 0x6a5dcb37
	v_mov_b32_e32 v20, 0xfca7ab0c
	v_mov_b32_e32 v21, 0x3e928af3
	s_mov_b32 s9, 0x3e5ade15
	v_fmac_f64_e32 v[20:21], s[8:9], v[18:19]
	v_mov_b32_e32 v22, 0x623fde64
	v_mov_b32_e32 v23, 0x3ec71dee
	v_fmac_f64_e32 v[22:23], v[18:19], v[20:21]
	v_mov_b32_e32 v20, 0x7c89e6b0
	v_mov_b32_e32 v21, 0x3efa0199
	;; [unrolled: 3-line block ×8, first 2 shown]
	v_fmac_f64_e32 v[20:21], v[18:19], v[22:23]
	v_fma_f64 v[20:21], v[18:19], v[20:21], 1.0
	s_mov_b32 s8, 0
	v_fma_f64 v[18:19], v[18:19], v[20:21], 1.0
	v_cvt_i32_f64_e32 v15, v[16:17]
	s_mov_b32 s9, 0x40900000
	v_ldexp_f64 v[16:17], v[18:19], v15
	v_mov_b32_e32 v15, 0x7ff00000
	v_cmp_ngt_f64_e64 vcc, |v[4:5]|, s[8:9]
	v_add_f64 v[2:3], v[2:3], -v[12:13]
	v_cndmask_b32_e32 v5, v15, v17, vcc
	v_cndmask_b32_e32 v4, 0, v16, vcc
	v_mul_f64 v[2:3], v[2:3], 0.5
	v_mul_f64 v[12:13], v[4:5], v[2:3]
                                        ; implicit-def: $vgpr4_vgpr5
.LBB1_14:
	s_andn2_saveexec_b64 s[6:7], s[6:7]
	s_cbranch_execz .LBB1_16
; %bb.15:
	s_mov_b32 s8, 0
	v_and_b32_e32 v3, 0x7fffffff, v5
	v_mov_b32_e32 v2, v4
	s_mov_b32 s9, 0x40400000
	v_div_scale_f64 v[12:13], s[10:11], v[2:3], v[2:3], s[8:9]
	v_rcp_f64_e32 v[16:17], v[12:13]
	v_div_scale_f64 v[2:3], vcc, s[8:9], v[2:3], s[8:9]
	v_mov_b32_e32 v20, 0xfca7ab0c
	v_fma_f64 v[18:19], -v[12:13], v[16:17], 1.0
	v_fmac_f64_e32 v[16:17], v[16:17], v[18:19]
	v_fma_f64 v[18:19], -v[12:13], v[16:17], 1.0
	v_fmac_f64_e32 v[16:17], v[16:17], v[18:19]
	v_mul_f64 v[18:19], v[2:3], v[16:17]
	v_fma_f64 v[2:3], -v[12:13], v[18:19], v[2:3]
	v_div_fmas_f64 v[2:3], v[2:3], v[16:17], v[18:19]
	v_div_fixup_f64 v[2:3], v[2:3], |v[4:5]|, s[8:9]
	s_mov_b32 s8, 0x54ca8b19
	v_add_f64 v[2:3], v[2:3], -2.0
	v_mov_b32_e32 v12, 0x66119130
	v_mov_b32_e32 v13, 0xbc5646da
	s_mov_b32 s9, 0xbc60adb7
	v_fmac_f64_e32 v[12:13], s[8:9], v[2:3]
	v_mov_b32_e32 v16, 0x54ca8b19
	v_mov_b32_e32 v17, 0x3c60adb7
	s_mov_b32 s8, 0x12d98421
	v_fmac_f64_e32 v[16:17], v[2:3], v[12:13]
	s_mov_b32 s9, 0x3c89be18
	v_add_f64 v[16:17], v[16:17], s[8:9]
	s_mov_b32 s8, 0x76041cd
	v_fma_f64 v[12:13], v[2:3], v[16:17], -v[12:13]
	s_mov_b32 s9, 0x3c83f3dd
	v_add_f64 v[12:13], v[12:13], s[8:9]
	s_mov_b32 s8, 0xabd21fe4
	v_fma_f64 v[16:17], v[2:3], v[12:13], -v[16:17]
	;; [unrolled: 4-line block ×22, first 2 shown]
	s_mov_b32 s9, 0x3fe9be62
	v_add_f64 v[2:3], v[2:3], s[8:9]
	s_mov_b32 s8, 0x652b82fe
	s_mov_b32 s9, 0x3ff71547
	v_mul_f64 v[12:13], |v[4:5]|, s[8:9]
	s_mov_b32 s8, 0xfefa39ef
	v_rndne_f64_e32 v[12:13], v[12:13]
	s_mov_b32 s9, 0xbfe62e42
	v_fma_f64 v[18:19], v[12:13], s[8:9], |v[4:5]|
	s_mov_b32 s8, 0x3b39803f
	s_mov_b32 s9, 0xbc7abc9e
	v_fmac_f64_e32 v[18:19], s[8:9], v[12:13]
	s_mov_b32 s8, 0x6a5dcb37
	v_mov_b32_e32 v21, 0x3e928af3
	s_mov_b32 s9, 0x3e5ade15
	v_fmac_f64_e32 v[20:21], s[8:9], v[18:19]
	v_mov_b32_e32 v22, 0x623fde64
	v_mov_b32_e32 v23, 0x3ec71dee
	v_fmac_f64_e32 v[22:23], v[18:19], v[20:21]
	v_mov_b32_e32 v20, 0x7c89e6b0
	v_mov_b32_e32 v21, 0x3efa0199
	;; [unrolled: 3-line block ×8, first 2 shown]
	v_fmac_f64_e32 v[20:21], v[18:19], v[22:23]
	s_mov_b32 s8, 0
	v_fma_f64 v[20:21], v[18:19], v[20:21], 1.0
	s_mov_b32 s9, 0x40900000
	v_fma_f64 v[18:19], v[18:19], v[20:21], 1.0
	v_cvt_i32_f64_e32 v12, v[12:13]
	v_cmp_ngt_f64_e64 vcc, |v[4:5]|, s[8:9]
	s_mov_b32 s8, 0
	v_ldexp_f64 v[12:13], v[18:19], v12
	v_mov_b32_e32 v15, 0x7ff00000
	s_brev_b32 s9, 8
	v_cndmask_b32_e32 v13, v15, v13, vcc
	v_cndmask_b32_e32 v12, 0, v12, vcc
	v_cmp_lt_f64_e64 vcc, |v[4:5]|, s[8:9]
	v_cndmask_b32_e64 v15, 0, 1, vcc
	v_lshlrev_b32_e32 v15, 8, v15
	v_ldexp_f64 v[4:5], |v[4:5]|, v15
	v_rsq_f64_e32 v[18:19], v[4:5]
	v_add_f64 v[2:3], v[2:3], -v[16:17]
	v_mul_f64 v[2:3], v[2:3], 0.5
	v_mul_f64 v[2:3], v[12:13], v[2:3]
	v_mul_f64 v[12:13], v[4:5], v[18:19]
	v_mul_f64 v[16:17], v[18:19], 0.5
	v_fma_f64 v[18:19], -v[16:17], v[12:13], 0.5
	v_fmac_f64_e32 v[12:13], v[12:13], v[18:19]
	v_fma_f64 v[20:21], -v[12:13], v[12:13], v[4:5]
	v_fmac_f64_e32 v[16:17], v[16:17], v[18:19]
	v_fmac_f64_e32 v[12:13], v[20:21], v[16:17]
	v_fma_f64 v[18:19], -v[12:13], v[12:13], v[4:5]
	v_mov_b32_e32 v15, 0xffffff80
	v_fmac_f64_e32 v[12:13], v[18:19], v[16:17]
	v_cndmask_b32_e32 v15, 0, v15, vcc
	v_ldexp_f64 v[12:13], v[12:13], v15
	v_mov_b32_e32 v15, 0x260
	v_cmp_class_f64_e32 vcc, v[4:5], v15
	v_cndmask_b32_e32 v5, v13, v5, vcc
	v_cndmask_b32_e32 v4, v12, v4, vcc
	v_div_scale_f64 v[12:13], s[8:9], v[4:5], v[4:5], v[2:3]
	v_rcp_f64_e32 v[16:17], v[12:13]
	v_fma_f64 v[18:19], -v[12:13], v[16:17], 1.0
	v_fmac_f64_e32 v[16:17], v[16:17], v[18:19]
	v_fma_f64 v[18:19], -v[12:13], v[16:17], 1.0
	v_fmac_f64_e32 v[16:17], v[16:17], v[18:19]
	v_div_scale_f64 v[18:19], vcc, v[2:3], v[4:5], v[2:3]
	v_mul_f64 v[20:21], v[18:19], v[16:17]
	v_fma_f64 v[12:13], -v[12:13], v[20:21], v[18:19]
	s_nop 1
	v_div_fmas_f64 v[12:13], v[12:13], v[16:17], v[20:21]
	v_div_fixup_f64 v[12:13], v[12:13], v[4:5], v[2:3]
.LBB1_16:
	s_or_b64 exec, exec, s[6:7]
	v_mov_b32_e32 v2, s5
	v_add_co_u32_e32 v0, vcc, s4, v0
	v_addc_co_u32_e32 v1, vcc, v1, v2, vcc
	v_add_co_u32_e32 v0, vcc, v0, v14
	v_addc_co_u32_e32 v1, vcc, 0, v1, vcc
	flat_store_dwordx4 v[0:1], v[6:9]
	flat_store_dwordx4 v[0:1], v[10:13] offset:16
	s_waitcnt vmcnt(0) lgkmcnt(0)
	s_setpc_b64 s[30:31]
.Lfunc_end1:
	.size	_ZN2at6native25elementwise_kernel_helperILb0EZZZNS0_12_GLOBAL__N_130modified_bessel_i0_kernel_cudaERNS_18TensorIteratorBaseEENKUlvE_clEvENKUlvE_clEvEUldE_NS0_6memory8policies10vectorizedILi4ESt5arrayIPcLm2EELi4EEEEEvT0_T1_, .Lfunc_end1-_ZN2at6native25elementwise_kernel_helperILb0EZZZNS0_12_GLOBAL__N_130modified_bessel_i0_kernel_cudaERNS_18TensorIteratorBaseEENKUlvE_clEvENKUlvE_clEvEUldE_NS0_6memory8policies10vectorizedILi4ESt5arrayIPcLm2EELi4EEEEEvT0_T1_
                                        ; -- End function
	.section	.AMDGPU.csdata,"",@progbits
; Function info:
; codeLenInByte = 11344
; NumSgprs: 36
; NumVgprs: 32
; NumAgprs: 0
; TotalNumVgprs: 32
; ScratchSize: 0
; MemoryBound: 0
	.section	.text._ZN2at6native29vectorized_elementwise_kernelILi16EZZZNS0_12_GLOBAL__N_130modified_bessel_i0_kernel_cudaERNS_18TensorIteratorBaseEENKUlvE_clEvENKUlvE_clEvEUldE_St5arrayIPcLm2EEEEviT0_T1_,"axG",@progbits,_ZN2at6native29vectorized_elementwise_kernelILi16EZZZNS0_12_GLOBAL__N_130modified_bessel_i0_kernel_cudaERNS_18TensorIteratorBaseEENKUlvE_clEvENKUlvE_clEvEUldE_St5arrayIPcLm2EEEEviT0_T1_,comdat
	.globl	_ZN2at6native29vectorized_elementwise_kernelILi16EZZZNS0_12_GLOBAL__N_130modified_bessel_i0_kernel_cudaERNS_18TensorIteratorBaseEENKUlvE_clEvENKUlvE_clEvEUldE_St5arrayIPcLm2EEEEviT0_T1_ ; -- Begin function _ZN2at6native29vectorized_elementwise_kernelILi16EZZZNS0_12_GLOBAL__N_130modified_bessel_i0_kernel_cudaERNS_18TensorIteratorBaseEENKUlvE_clEvENKUlvE_clEvEUldE_St5arrayIPcLm2EEEEviT0_T1_
	.p2align	8
	.type	_ZN2at6native29vectorized_elementwise_kernelILi16EZZZNS0_12_GLOBAL__N_130modified_bessel_i0_kernel_cudaERNS_18TensorIteratorBaseEENKUlvE_clEvENKUlvE_clEvEUldE_St5arrayIPcLm2EEEEviT0_T1_,@function
_ZN2at6native29vectorized_elementwise_kernelILi16EZZZNS0_12_GLOBAL__N_130modified_bessel_i0_kernel_cudaERNS_18TensorIteratorBaseEENKUlvE_clEvENKUlvE_clEvEUldE_St5arrayIPcLm2EEEEviT0_T1_: ; @_ZN2at6native29vectorized_elementwise_kernelILi16EZZZNS0_12_GLOBAL__N_130modified_bessel_i0_kernel_cudaERNS_18TensorIteratorBaseEENKUlvE_clEvENKUlvE_clEvEUldE_St5arrayIPcLm2EEEEviT0_T1_
; %bb.0:
	s_add_u32 flat_scratch_lo, s6, s9
	s_load_dword s6, s[4:5], 0x0
	s_load_dwordx4 s[16:19], s[4:5], 0x8
	s_addc_u32 flat_scratch_hi, s7, 0
	s_add_u32 s0, s0, s9
	s_addc_u32 s1, s1, 0
	s_lshl_b32 s4, s8, 10
	s_waitcnt lgkmcnt(0)
	s_sub_i32 s13, s6, s4
	s_mov_b32 s12, s8
	v_mov_b32_e32 v31, v0
	s_cmpk_gt_i32 s13, 0x3ff
	s_mov_b64 s[4:5], -1
	s_mov_b32 s32, 0
	s_cbranch_scc1 .LBB2_3
; %bb.1:
	s_andn2_b64 vcc, exec, s[4:5]
	s_cbranch_vccz .LBB2_4
.LBB2_2:
	s_endpgm
.LBB2_3:
	v_mov_b32_e32 v0, s16
	v_mov_b32_e32 v1, s17
	;; [unrolled: 1-line block ×4, first 2 shown]
	s_getpc_b64 s[4:5]
	s_add_u32 s4, s4, _ZN2at6native25elementwise_kernel_helperILb0EZZZNS0_12_GLOBAL__N_130modified_bessel_i0_kernel_cudaERNS_18TensorIteratorBaseEENKUlvE_clEvENKUlvE_clEvEUldE_NS0_6memory8policies10vectorizedILi4ESt5arrayIPcLm2EELi4EEEEEvT0_T1_@rel32@lo+4
	s_addc_u32 s5, s5, _ZN2at6native25elementwise_kernel_helperILb0EZZZNS0_12_GLOBAL__N_130modified_bessel_i0_kernel_cudaERNS_18TensorIteratorBaseEENKUlvE_clEvENKUlvE_clEvEUldE_NS0_6memory8policies10vectorizedILi4ESt5arrayIPcLm2EELi4EEEEEvT0_T1_@rel32@hi+12
	s_swappc_b64 s[30:31], s[4:5]
	s_cbranch_execnz .LBB2_2
.LBB2_4:
	v_mov_b32_e32 v0, s16
	v_mov_b32_e32 v1, s17
	;; [unrolled: 1-line block ×5, first 2 shown]
	s_getpc_b64 s[4:5]
	s_add_u32 s4, s4, _ZN2at6native25elementwise_kernel_helperILb0EZZZNS0_12_GLOBAL__N_130modified_bessel_i0_kernel_cudaERNS_18TensorIteratorBaseEENKUlvE_clEvENKUlvE_clEvEUldE_NS0_6memory8policies11unroll_baseILi256ESt5arrayIPcLm2EE23TrivialOffsetCalculatorILi1EjESF_NS8_15LoadWithoutCastENS8_16StoreWithoutCastELi4ELi1EEEEEvT0_T1_@rel32@lo+4
	s_addc_u32 s5, s5, _ZN2at6native25elementwise_kernel_helperILb0EZZZNS0_12_GLOBAL__N_130modified_bessel_i0_kernel_cudaERNS_18TensorIteratorBaseEENKUlvE_clEvENKUlvE_clEvEUldE_NS0_6memory8policies11unroll_baseILi256ESt5arrayIPcLm2EE23TrivialOffsetCalculatorILi1EjESF_NS8_15LoadWithoutCastENS8_16StoreWithoutCastELi4ELi1EEEEEvT0_T1_@rel32@hi+12
	s_swappc_b64 s[30:31], s[4:5]
	s_endpgm
	.section	.rodata,"a",@progbits
	.p2align	6, 0x0
	.amdhsa_kernel _ZN2at6native29vectorized_elementwise_kernelILi16EZZZNS0_12_GLOBAL__N_130modified_bessel_i0_kernel_cudaERNS_18TensorIteratorBaseEENKUlvE_clEvENKUlvE_clEvEUldE_St5arrayIPcLm2EEEEviT0_T1_
		.amdhsa_group_segment_fixed_size 0
		.amdhsa_private_segment_fixed_size 0
		.amdhsa_kernarg_size 24
		.amdhsa_user_sgpr_count 8
		.amdhsa_user_sgpr_private_segment_buffer 1
		.amdhsa_user_sgpr_dispatch_ptr 0
		.amdhsa_user_sgpr_queue_ptr 0
		.amdhsa_user_sgpr_kernarg_segment_ptr 1
		.amdhsa_user_sgpr_dispatch_id 0
		.amdhsa_user_sgpr_flat_scratch_init 1
		.amdhsa_user_sgpr_kernarg_preload_length 0
		.amdhsa_user_sgpr_kernarg_preload_offset 0
		.amdhsa_user_sgpr_private_segment_size 0
		.amdhsa_uses_dynamic_stack 0
		.amdhsa_system_sgpr_private_segment_wavefront_offset 0
		.amdhsa_system_sgpr_workgroup_id_x 1
		.amdhsa_system_sgpr_workgroup_id_y 0
		.amdhsa_system_sgpr_workgroup_id_z 0
		.amdhsa_system_sgpr_workgroup_info 0
		.amdhsa_system_vgpr_workitem_id 0
		.amdhsa_next_free_vgpr 32
		.amdhsa_next_free_sgpr 33
		.amdhsa_accum_offset 32
		.amdhsa_reserve_vcc 1
		.amdhsa_reserve_flat_scratch 1
		.amdhsa_float_round_mode_32 0
		.amdhsa_float_round_mode_16_64 0
		.amdhsa_float_denorm_mode_32 3
		.amdhsa_float_denorm_mode_16_64 3
		.amdhsa_dx10_clamp 1
		.amdhsa_ieee_mode 1
		.amdhsa_fp16_overflow 0
		.amdhsa_tg_split 0
		.amdhsa_exception_fp_ieee_invalid_op 0
		.amdhsa_exception_fp_denorm_src 0
		.amdhsa_exception_fp_ieee_div_zero 0
		.amdhsa_exception_fp_ieee_overflow 0
		.amdhsa_exception_fp_ieee_underflow 0
		.amdhsa_exception_fp_ieee_inexact 0
		.amdhsa_exception_int_div_zero 0
	.end_amdhsa_kernel
	.section	.text._ZN2at6native29vectorized_elementwise_kernelILi16EZZZNS0_12_GLOBAL__N_130modified_bessel_i0_kernel_cudaERNS_18TensorIteratorBaseEENKUlvE_clEvENKUlvE_clEvEUldE_St5arrayIPcLm2EEEEviT0_T1_,"axG",@progbits,_ZN2at6native29vectorized_elementwise_kernelILi16EZZZNS0_12_GLOBAL__N_130modified_bessel_i0_kernel_cudaERNS_18TensorIteratorBaseEENKUlvE_clEvENKUlvE_clEvEUldE_St5arrayIPcLm2EEEEviT0_T1_,comdat
.Lfunc_end2:
	.size	_ZN2at6native29vectorized_elementwise_kernelILi16EZZZNS0_12_GLOBAL__N_130modified_bessel_i0_kernel_cudaERNS_18TensorIteratorBaseEENKUlvE_clEvENKUlvE_clEvEUldE_St5arrayIPcLm2EEEEviT0_T1_, .Lfunc_end2-_ZN2at6native29vectorized_elementwise_kernelILi16EZZZNS0_12_GLOBAL__N_130modified_bessel_i0_kernel_cudaERNS_18TensorIteratorBaseEENKUlvE_clEvENKUlvE_clEvEUldE_St5arrayIPcLm2EEEEviT0_T1_
                                        ; -- End function
	.section	.AMDGPU.csdata,"",@progbits
; Kernel info:
; codeLenInByte = 172
; NumSgprs: 39
; NumVgprs: 32
; NumAgprs: 0
; TotalNumVgprs: 32
; ScratchSize: 0
; MemoryBound: 0
; FloatMode: 240
; IeeeMode: 1
; LDSByteSize: 0 bytes/workgroup (compile time only)
; SGPRBlocks: 4
; VGPRBlocks: 3
; NumSGPRsForWavesPerEU: 39
; NumVGPRsForWavesPerEU: 32
; AccumOffset: 32
; Occupancy: 8
; WaveLimiterHint : 0
; COMPUTE_PGM_RSRC2:SCRATCH_EN: 0
; COMPUTE_PGM_RSRC2:USER_SGPR: 8
; COMPUTE_PGM_RSRC2:TRAP_HANDLER: 0
; COMPUTE_PGM_RSRC2:TGID_X_EN: 1
; COMPUTE_PGM_RSRC2:TGID_Y_EN: 0
; COMPUTE_PGM_RSRC2:TGID_Z_EN: 0
; COMPUTE_PGM_RSRC2:TIDIG_COMP_CNT: 0
; COMPUTE_PGM_RSRC3_GFX90A:ACCUM_OFFSET: 7
; COMPUTE_PGM_RSRC3_GFX90A:TG_SPLIT: 0
	.section	.text._ZN2at6native29vectorized_elementwise_kernelILi8EZZZNS0_12_GLOBAL__N_130modified_bessel_i0_kernel_cudaERNS_18TensorIteratorBaseEENKUlvE_clEvENKUlvE_clEvEUldE_St5arrayIPcLm2EEEEviT0_T1_,"axG",@progbits,_ZN2at6native29vectorized_elementwise_kernelILi8EZZZNS0_12_GLOBAL__N_130modified_bessel_i0_kernel_cudaERNS_18TensorIteratorBaseEENKUlvE_clEvENKUlvE_clEvEUldE_St5arrayIPcLm2EEEEviT0_T1_,comdat
	.globl	_ZN2at6native29vectorized_elementwise_kernelILi8EZZZNS0_12_GLOBAL__N_130modified_bessel_i0_kernel_cudaERNS_18TensorIteratorBaseEENKUlvE_clEvENKUlvE_clEvEUldE_St5arrayIPcLm2EEEEviT0_T1_ ; -- Begin function _ZN2at6native29vectorized_elementwise_kernelILi8EZZZNS0_12_GLOBAL__N_130modified_bessel_i0_kernel_cudaERNS_18TensorIteratorBaseEENKUlvE_clEvENKUlvE_clEvEUldE_St5arrayIPcLm2EEEEviT0_T1_
	.p2align	8
	.type	_ZN2at6native29vectorized_elementwise_kernelILi8EZZZNS0_12_GLOBAL__N_130modified_bessel_i0_kernel_cudaERNS_18TensorIteratorBaseEENKUlvE_clEvENKUlvE_clEvEUldE_St5arrayIPcLm2EEEEviT0_T1_,@function
_ZN2at6native29vectorized_elementwise_kernelILi8EZZZNS0_12_GLOBAL__N_130modified_bessel_i0_kernel_cudaERNS_18TensorIteratorBaseEENKUlvE_clEvENKUlvE_clEvEUldE_St5arrayIPcLm2EEEEviT0_T1_: ; @_ZN2at6native29vectorized_elementwise_kernelILi8EZZZNS0_12_GLOBAL__N_130modified_bessel_i0_kernel_cudaERNS_18TensorIteratorBaseEENKUlvE_clEvENKUlvE_clEvEUldE_St5arrayIPcLm2EEEEviT0_T1_
; %bb.0:
	s_add_u32 flat_scratch_lo, s6, s9
	s_load_dword s6, s[4:5], 0x0
	s_load_dwordx4 s[16:19], s[4:5], 0x8
	s_addc_u32 flat_scratch_hi, s7, 0
	s_add_u32 s0, s0, s9
	s_addc_u32 s1, s1, 0
	s_lshl_b32 s4, s8, 10
	s_waitcnt lgkmcnt(0)
	s_sub_i32 s13, s6, s4
	s_mov_b32 s12, s8
	v_mov_b32_e32 v31, v0
	s_cmpk_gt_i32 s13, 0x3ff
	s_mov_b64 s[4:5], -1
	s_mov_b32 s32, 0
	s_cbranch_scc1 .LBB3_3
; %bb.1:
	s_andn2_b64 vcc, exec, s[4:5]
	s_cbranch_vccz .LBB3_4
.LBB3_2:
	s_endpgm
.LBB3_3:
	v_mov_b32_e32 v0, s16
	v_mov_b32_e32 v1, s17
	;; [unrolled: 1-line block ×4, first 2 shown]
	s_getpc_b64 s[4:5]
	s_add_u32 s4, s4, _ZN2at6native25elementwise_kernel_helperILb0EZZZNS0_12_GLOBAL__N_130modified_bessel_i0_kernel_cudaERNS_18TensorIteratorBaseEENKUlvE_clEvENKUlvE_clEvEUldE_NS0_6memory8policies10vectorizedILi4ESt5arrayIPcLm2EELi4EEEEEvT0_T1_@rel32@lo+4
	s_addc_u32 s5, s5, _ZN2at6native25elementwise_kernel_helperILb0EZZZNS0_12_GLOBAL__N_130modified_bessel_i0_kernel_cudaERNS_18TensorIteratorBaseEENKUlvE_clEvENKUlvE_clEvEUldE_NS0_6memory8policies10vectorizedILi4ESt5arrayIPcLm2EELi4EEEEEvT0_T1_@rel32@hi+12
	s_swappc_b64 s[30:31], s[4:5]
	s_cbranch_execnz .LBB3_2
.LBB3_4:
	v_mov_b32_e32 v0, s16
	v_mov_b32_e32 v1, s17
	;; [unrolled: 1-line block ×5, first 2 shown]
	s_getpc_b64 s[4:5]
	s_add_u32 s4, s4, _ZN2at6native25elementwise_kernel_helperILb0EZZZNS0_12_GLOBAL__N_130modified_bessel_i0_kernel_cudaERNS_18TensorIteratorBaseEENKUlvE_clEvENKUlvE_clEvEUldE_NS0_6memory8policies11unroll_baseILi256ESt5arrayIPcLm2EE23TrivialOffsetCalculatorILi1EjESF_NS8_15LoadWithoutCastENS8_16StoreWithoutCastELi4ELi1EEEEEvT0_T1_@rel32@lo+4
	s_addc_u32 s5, s5, _ZN2at6native25elementwise_kernel_helperILb0EZZZNS0_12_GLOBAL__N_130modified_bessel_i0_kernel_cudaERNS_18TensorIteratorBaseEENKUlvE_clEvENKUlvE_clEvEUldE_NS0_6memory8policies11unroll_baseILi256ESt5arrayIPcLm2EE23TrivialOffsetCalculatorILi1EjESF_NS8_15LoadWithoutCastENS8_16StoreWithoutCastELi4ELi1EEEEEvT0_T1_@rel32@hi+12
	s_swappc_b64 s[30:31], s[4:5]
	s_endpgm
	.section	.rodata,"a",@progbits
	.p2align	6, 0x0
	.amdhsa_kernel _ZN2at6native29vectorized_elementwise_kernelILi8EZZZNS0_12_GLOBAL__N_130modified_bessel_i0_kernel_cudaERNS_18TensorIteratorBaseEENKUlvE_clEvENKUlvE_clEvEUldE_St5arrayIPcLm2EEEEviT0_T1_
		.amdhsa_group_segment_fixed_size 0
		.amdhsa_private_segment_fixed_size 0
		.amdhsa_kernarg_size 24
		.amdhsa_user_sgpr_count 8
		.amdhsa_user_sgpr_private_segment_buffer 1
		.amdhsa_user_sgpr_dispatch_ptr 0
		.amdhsa_user_sgpr_queue_ptr 0
		.amdhsa_user_sgpr_kernarg_segment_ptr 1
		.amdhsa_user_sgpr_dispatch_id 0
		.amdhsa_user_sgpr_flat_scratch_init 1
		.amdhsa_user_sgpr_kernarg_preload_length 0
		.amdhsa_user_sgpr_kernarg_preload_offset 0
		.amdhsa_user_sgpr_private_segment_size 0
		.amdhsa_uses_dynamic_stack 0
		.amdhsa_system_sgpr_private_segment_wavefront_offset 0
		.amdhsa_system_sgpr_workgroup_id_x 1
		.amdhsa_system_sgpr_workgroup_id_y 0
		.amdhsa_system_sgpr_workgroup_id_z 0
		.amdhsa_system_sgpr_workgroup_info 0
		.amdhsa_system_vgpr_workitem_id 0
		.amdhsa_next_free_vgpr 32
		.amdhsa_next_free_sgpr 33
		.amdhsa_accum_offset 32
		.amdhsa_reserve_vcc 1
		.amdhsa_reserve_flat_scratch 1
		.amdhsa_float_round_mode_32 0
		.amdhsa_float_round_mode_16_64 0
		.amdhsa_float_denorm_mode_32 3
		.amdhsa_float_denorm_mode_16_64 3
		.amdhsa_dx10_clamp 1
		.amdhsa_ieee_mode 1
		.amdhsa_fp16_overflow 0
		.amdhsa_tg_split 0
		.amdhsa_exception_fp_ieee_invalid_op 0
		.amdhsa_exception_fp_denorm_src 0
		.amdhsa_exception_fp_ieee_div_zero 0
		.amdhsa_exception_fp_ieee_overflow 0
		.amdhsa_exception_fp_ieee_underflow 0
		.amdhsa_exception_fp_ieee_inexact 0
		.amdhsa_exception_int_div_zero 0
	.end_amdhsa_kernel
	.section	.text._ZN2at6native29vectorized_elementwise_kernelILi8EZZZNS0_12_GLOBAL__N_130modified_bessel_i0_kernel_cudaERNS_18TensorIteratorBaseEENKUlvE_clEvENKUlvE_clEvEUldE_St5arrayIPcLm2EEEEviT0_T1_,"axG",@progbits,_ZN2at6native29vectorized_elementwise_kernelILi8EZZZNS0_12_GLOBAL__N_130modified_bessel_i0_kernel_cudaERNS_18TensorIteratorBaseEENKUlvE_clEvENKUlvE_clEvEUldE_St5arrayIPcLm2EEEEviT0_T1_,comdat
.Lfunc_end3:
	.size	_ZN2at6native29vectorized_elementwise_kernelILi8EZZZNS0_12_GLOBAL__N_130modified_bessel_i0_kernel_cudaERNS_18TensorIteratorBaseEENKUlvE_clEvENKUlvE_clEvEUldE_St5arrayIPcLm2EEEEviT0_T1_, .Lfunc_end3-_ZN2at6native29vectorized_elementwise_kernelILi8EZZZNS0_12_GLOBAL__N_130modified_bessel_i0_kernel_cudaERNS_18TensorIteratorBaseEENKUlvE_clEvENKUlvE_clEvEUldE_St5arrayIPcLm2EEEEviT0_T1_
                                        ; -- End function
	.section	.AMDGPU.csdata,"",@progbits
; Kernel info:
; codeLenInByte = 172
; NumSgprs: 39
; NumVgprs: 32
; NumAgprs: 0
; TotalNumVgprs: 32
; ScratchSize: 0
; MemoryBound: 0
; FloatMode: 240
; IeeeMode: 1
; LDSByteSize: 0 bytes/workgroup (compile time only)
; SGPRBlocks: 4
; VGPRBlocks: 3
; NumSGPRsForWavesPerEU: 39
; NumVGPRsForWavesPerEU: 32
; AccumOffset: 32
; Occupancy: 8
; WaveLimiterHint : 0
; COMPUTE_PGM_RSRC2:SCRATCH_EN: 0
; COMPUTE_PGM_RSRC2:USER_SGPR: 8
; COMPUTE_PGM_RSRC2:TRAP_HANDLER: 0
; COMPUTE_PGM_RSRC2:TGID_X_EN: 1
; COMPUTE_PGM_RSRC2:TGID_Y_EN: 0
; COMPUTE_PGM_RSRC2:TGID_Z_EN: 0
; COMPUTE_PGM_RSRC2:TIDIG_COMP_CNT: 0
; COMPUTE_PGM_RSRC3_GFX90A:ACCUM_OFFSET: 7
; COMPUTE_PGM_RSRC3_GFX90A:TG_SPLIT: 0
	.section	.text._ZN2at6native29vectorized_elementwise_kernelILi4EZZZNS0_12_GLOBAL__N_130modified_bessel_i0_kernel_cudaERNS_18TensorIteratorBaseEENKUlvE_clEvENKUlvE_clEvEUldE_St5arrayIPcLm2EEEEviT0_T1_,"axG",@progbits,_ZN2at6native29vectorized_elementwise_kernelILi4EZZZNS0_12_GLOBAL__N_130modified_bessel_i0_kernel_cudaERNS_18TensorIteratorBaseEENKUlvE_clEvENKUlvE_clEvEUldE_St5arrayIPcLm2EEEEviT0_T1_,comdat
	.globl	_ZN2at6native29vectorized_elementwise_kernelILi4EZZZNS0_12_GLOBAL__N_130modified_bessel_i0_kernel_cudaERNS_18TensorIteratorBaseEENKUlvE_clEvENKUlvE_clEvEUldE_St5arrayIPcLm2EEEEviT0_T1_ ; -- Begin function _ZN2at6native29vectorized_elementwise_kernelILi4EZZZNS0_12_GLOBAL__N_130modified_bessel_i0_kernel_cudaERNS_18TensorIteratorBaseEENKUlvE_clEvENKUlvE_clEvEUldE_St5arrayIPcLm2EEEEviT0_T1_
	.p2align	8
	.type	_ZN2at6native29vectorized_elementwise_kernelILi4EZZZNS0_12_GLOBAL__N_130modified_bessel_i0_kernel_cudaERNS_18TensorIteratorBaseEENKUlvE_clEvENKUlvE_clEvEUldE_St5arrayIPcLm2EEEEviT0_T1_,@function
_ZN2at6native29vectorized_elementwise_kernelILi4EZZZNS0_12_GLOBAL__N_130modified_bessel_i0_kernel_cudaERNS_18TensorIteratorBaseEENKUlvE_clEvENKUlvE_clEvEUldE_St5arrayIPcLm2EEEEviT0_T1_: ; @_ZN2at6native29vectorized_elementwise_kernelILi4EZZZNS0_12_GLOBAL__N_130modified_bessel_i0_kernel_cudaERNS_18TensorIteratorBaseEENKUlvE_clEvENKUlvE_clEvEUldE_St5arrayIPcLm2EEEEviT0_T1_
; %bb.0:
	s_add_u32 flat_scratch_lo, s6, s9
	s_load_dword s6, s[4:5], 0x0
	s_load_dwordx4 s[16:19], s[4:5], 0x8
	s_addc_u32 flat_scratch_hi, s7, 0
	s_add_u32 s0, s0, s9
	s_addc_u32 s1, s1, 0
	s_lshl_b32 s4, s8, 10
	s_waitcnt lgkmcnt(0)
	s_sub_i32 s13, s6, s4
	s_mov_b32 s12, s8
	v_mov_b32_e32 v31, v0
	s_cmpk_gt_i32 s13, 0x3ff
	s_mov_b64 s[4:5], -1
	s_mov_b32 s32, 0
	s_cbranch_scc1 .LBB4_3
; %bb.1:
	s_andn2_b64 vcc, exec, s[4:5]
	s_cbranch_vccz .LBB4_4
.LBB4_2:
	s_endpgm
.LBB4_3:
	v_mov_b32_e32 v0, s16
	v_mov_b32_e32 v1, s17
	;; [unrolled: 1-line block ×4, first 2 shown]
	s_getpc_b64 s[4:5]
	s_add_u32 s4, s4, _ZN2at6native25elementwise_kernel_helperILb0EZZZNS0_12_GLOBAL__N_130modified_bessel_i0_kernel_cudaERNS_18TensorIteratorBaseEENKUlvE_clEvENKUlvE_clEvEUldE_NS0_6memory8policies10vectorizedILi4ESt5arrayIPcLm2EELi4EEEEEvT0_T1_@rel32@lo+4
	s_addc_u32 s5, s5, _ZN2at6native25elementwise_kernel_helperILb0EZZZNS0_12_GLOBAL__N_130modified_bessel_i0_kernel_cudaERNS_18TensorIteratorBaseEENKUlvE_clEvENKUlvE_clEvEUldE_NS0_6memory8policies10vectorizedILi4ESt5arrayIPcLm2EELi4EEEEEvT0_T1_@rel32@hi+12
	s_swappc_b64 s[30:31], s[4:5]
	s_cbranch_execnz .LBB4_2
.LBB4_4:
	v_mov_b32_e32 v0, s16
	v_mov_b32_e32 v1, s17
	;; [unrolled: 1-line block ×5, first 2 shown]
	s_getpc_b64 s[4:5]
	s_add_u32 s4, s4, _ZN2at6native25elementwise_kernel_helperILb0EZZZNS0_12_GLOBAL__N_130modified_bessel_i0_kernel_cudaERNS_18TensorIteratorBaseEENKUlvE_clEvENKUlvE_clEvEUldE_NS0_6memory8policies11unroll_baseILi256ESt5arrayIPcLm2EE23TrivialOffsetCalculatorILi1EjESF_NS8_15LoadWithoutCastENS8_16StoreWithoutCastELi4ELi1EEEEEvT0_T1_@rel32@lo+4
	s_addc_u32 s5, s5, _ZN2at6native25elementwise_kernel_helperILb0EZZZNS0_12_GLOBAL__N_130modified_bessel_i0_kernel_cudaERNS_18TensorIteratorBaseEENKUlvE_clEvENKUlvE_clEvEUldE_NS0_6memory8policies11unroll_baseILi256ESt5arrayIPcLm2EE23TrivialOffsetCalculatorILi1EjESF_NS8_15LoadWithoutCastENS8_16StoreWithoutCastELi4ELi1EEEEEvT0_T1_@rel32@hi+12
	s_swappc_b64 s[30:31], s[4:5]
	s_endpgm
	.section	.rodata,"a",@progbits
	.p2align	6, 0x0
	.amdhsa_kernel _ZN2at6native29vectorized_elementwise_kernelILi4EZZZNS0_12_GLOBAL__N_130modified_bessel_i0_kernel_cudaERNS_18TensorIteratorBaseEENKUlvE_clEvENKUlvE_clEvEUldE_St5arrayIPcLm2EEEEviT0_T1_
		.amdhsa_group_segment_fixed_size 0
		.amdhsa_private_segment_fixed_size 0
		.amdhsa_kernarg_size 24
		.amdhsa_user_sgpr_count 8
		.amdhsa_user_sgpr_private_segment_buffer 1
		.amdhsa_user_sgpr_dispatch_ptr 0
		.amdhsa_user_sgpr_queue_ptr 0
		.amdhsa_user_sgpr_kernarg_segment_ptr 1
		.amdhsa_user_sgpr_dispatch_id 0
		.amdhsa_user_sgpr_flat_scratch_init 1
		.amdhsa_user_sgpr_kernarg_preload_length 0
		.amdhsa_user_sgpr_kernarg_preload_offset 0
		.amdhsa_user_sgpr_private_segment_size 0
		.amdhsa_uses_dynamic_stack 0
		.amdhsa_system_sgpr_private_segment_wavefront_offset 0
		.amdhsa_system_sgpr_workgroup_id_x 1
		.amdhsa_system_sgpr_workgroup_id_y 0
		.amdhsa_system_sgpr_workgroup_id_z 0
		.amdhsa_system_sgpr_workgroup_info 0
		.amdhsa_system_vgpr_workitem_id 0
		.amdhsa_next_free_vgpr 32
		.amdhsa_next_free_sgpr 33
		.amdhsa_accum_offset 32
		.amdhsa_reserve_vcc 1
		.amdhsa_reserve_flat_scratch 1
		.amdhsa_float_round_mode_32 0
		.amdhsa_float_round_mode_16_64 0
		.amdhsa_float_denorm_mode_32 3
		.amdhsa_float_denorm_mode_16_64 3
		.amdhsa_dx10_clamp 1
		.amdhsa_ieee_mode 1
		.amdhsa_fp16_overflow 0
		.amdhsa_tg_split 0
		.amdhsa_exception_fp_ieee_invalid_op 0
		.amdhsa_exception_fp_denorm_src 0
		.amdhsa_exception_fp_ieee_div_zero 0
		.amdhsa_exception_fp_ieee_overflow 0
		.amdhsa_exception_fp_ieee_underflow 0
		.amdhsa_exception_fp_ieee_inexact 0
		.amdhsa_exception_int_div_zero 0
	.end_amdhsa_kernel
	.section	.text._ZN2at6native29vectorized_elementwise_kernelILi4EZZZNS0_12_GLOBAL__N_130modified_bessel_i0_kernel_cudaERNS_18TensorIteratorBaseEENKUlvE_clEvENKUlvE_clEvEUldE_St5arrayIPcLm2EEEEviT0_T1_,"axG",@progbits,_ZN2at6native29vectorized_elementwise_kernelILi4EZZZNS0_12_GLOBAL__N_130modified_bessel_i0_kernel_cudaERNS_18TensorIteratorBaseEENKUlvE_clEvENKUlvE_clEvEUldE_St5arrayIPcLm2EEEEviT0_T1_,comdat
.Lfunc_end4:
	.size	_ZN2at6native29vectorized_elementwise_kernelILi4EZZZNS0_12_GLOBAL__N_130modified_bessel_i0_kernel_cudaERNS_18TensorIteratorBaseEENKUlvE_clEvENKUlvE_clEvEUldE_St5arrayIPcLm2EEEEviT0_T1_, .Lfunc_end4-_ZN2at6native29vectorized_elementwise_kernelILi4EZZZNS0_12_GLOBAL__N_130modified_bessel_i0_kernel_cudaERNS_18TensorIteratorBaseEENKUlvE_clEvENKUlvE_clEvEUldE_St5arrayIPcLm2EEEEviT0_T1_
                                        ; -- End function
	.section	.AMDGPU.csdata,"",@progbits
; Kernel info:
; codeLenInByte = 172
; NumSgprs: 39
; NumVgprs: 32
; NumAgprs: 0
; TotalNumVgprs: 32
; ScratchSize: 0
; MemoryBound: 0
; FloatMode: 240
; IeeeMode: 1
; LDSByteSize: 0 bytes/workgroup (compile time only)
; SGPRBlocks: 4
; VGPRBlocks: 3
; NumSGPRsForWavesPerEU: 39
; NumVGPRsForWavesPerEU: 32
; AccumOffset: 32
; Occupancy: 8
; WaveLimiterHint : 0
; COMPUTE_PGM_RSRC2:SCRATCH_EN: 0
; COMPUTE_PGM_RSRC2:USER_SGPR: 8
; COMPUTE_PGM_RSRC2:TRAP_HANDLER: 0
; COMPUTE_PGM_RSRC2:TGID_X_EN: 1
; COMPUTE_PGM_RSRC2:TGID_Y_EN: 0
; COMPUTE_PGM_RSRC2:TGID_Z_EN: 0
; COMPUTE_PGM_RSRC2:TIDIG_COMP_CNT: 0
; COMPUTE_PGM_RSRC3_GFX90A:ACCUM_OFFSET: 7
; COMPUTE_PGM_RSRC3_GFX90A:TG_SPLIT: 0
	.section	.text._ZN2at6native29vectorized_elementwise_kernelILi2EZZZNS0_12_GLOBAL__N_130modified_bessel_i0_kernel_cudaERNS_18TensorIteratorBaseEENKUlvE_clEvENKUlvE_clEvEUldE_St5arrayIPcLm2EEEEviT0_T1_,"axG",@progbits,_ZN2at6native29vectorized_elementwise_kernelILi2EZZZNS0_12_GLOBAL__N_130modified_bessel_i0_kernel_cudaERNS_18TensorIteratorBaseEENKUlvE_clEvENKUlvE_clEvEUldE_St5arrayIPcLm2EEEEviT0_T1_,comdat
	.globl	_ZN2at6native29vectorized_elementwise_kernelILi2EZZZNS0_12_GLOBAL__N_130modified_bessel_i0_kernel_cudaERNS_18TensorIteratorBaseEENKUlvE_clEvENKUlvE_clEvEUldE_St5arrayIPcLm2EEEEviT0_T1_ ; -- Begin function _ZN2at6native29vectorized_elementwise_kernelILi2EZZZNS0_12_GLOBAL__N_130modified_bessel_i0_kernel_cudaERNS_18TensorIteratorBaseEENKUlvE_clEvENKUlvE_clEvEUldE_St5arrayIPcLm2EEEEviT0_T1_
	.p2align	8
	.type	_ZN2at6native29vectorized_elementwise_kernelILi2EZZZNS0_12_GLOBAL__N_130modified_bessel_i0_kernel_cudaERNS_18TensorIteratorBaseEENKUlvE_clEvENKUlvE_clEvEUldE_St5arrayIPcLm2EEEEviT0_T1_,@function
_ZN2at6native29vectorized_elementwise_kernelILi2EZZZNS0_12_GLOBAL__N_130modified_bessel_i0_kernel_cudaERNS_18TensorIteratorBaseEENKUlvE_clEvENKUlvE_clEvEUldE_St5arrayIPcLm2EEEEviT0_T1_: ; @_ZN2at6native29vectorized_elementwise_kernelILi2EZZZNS0_12_GLOBAL__N_130modified_bessel_i0_kernel_cudaERNS_18TensorIteratorBaseEENKUlvE_clEvENKUlvE_clEvEUldE_St5arrayIPcLm2EEEEviT0_T1_
; %bb.0:
	s_add_u32 flat_scratch_lo, s6, s9
	s_load_dword s6, s[4:5], 0x0
	s_load_dwordx4 s[16:19], s[4:5], 0x8
	s_addc_u32 flat_scratch_hi, s7, 0
	s_add_u32 s0, s0, s9
	s_addc_u32 s1, s1, 0
	s_lshl_b32 s4, s8, 10
	s_waitcnt lgkmcnt(0)
	s_sub_i32 s9, s6, s4
	s_cmpk_gt_i32 s9, 0x3ff
	s_mov_b64 s[6:7], -1
	s_mov_b32 s32, 0
	s_cbranch_scc1 .LBB5_3
; %bb.1:
	s_and_b64 vcc, exec, s[6:7]
	s_cbranch_vccnz .LBB5_20
.LBB5_2:
	s_endpgm
.LBB5_3:
	s_ashr_i32 s5, s4, 31
	s_lshl_b64 s[4:5], s[4:5], 3
	s_add_u32 s6, s18, s4
	s_addc_u32 s7, s19, s5
	v_lshlrev_b32_e32 v1, 4, v0
	v_mov_b32_e32 v2, s7
	v_add_co_u32_e32 v3, vcc, s6, v1
	v_addc_co_u32_e32 v2, vcc, 0, v2, vcc
	v_add_co_u32_e32 v6, vcc, 0x1000, v3
	v_addc_co_u32_e32 v7, vcc, 0, v2, vcc
	global_load_dwordx4 v[8:11], v1, s[6:7]
	global_load_dwordx4 v[2:5], v[6:7], off
	s_mov_b32 s6, 0
	s_mov_b32 s7, 0x40200000
                                        ; implicit-def: $vgpr6_vgpr7
	s_waitcnt vmcnt(1)
	v_cmp_le_f64_e64 s[6:7], |v[8:9]|, s[6:7]
	s_and_saveexec_b64 s[10:11], s[6:7]
	s_xor_b64 s[6:7], exec, s[10:11]
	s_cbranch_execz .LBB5_5
; %bb.4:
	s_mov_b32 s10, 0x2134d0ef
	v_fma_f64 v[6:7], |v[8:9]|, 0.5, -2.0
	v_mov_b32_e32 v12, 0x977da589
	v_mov_b32_e32 v13, 0x3c833362
	s_mov_b32 s11, 0xbc545cb7
	v_fmac_f64_e32 v[12:13], s[10:11], v[6:7]
	v_mov_b32_e32 v14, 0x2134d0ef
	v_mov_b32_e32 v15, 0x3c545cb7
	s_mov_b32 s10, 0x721ebbb4
	v_fmac_f64_e32 v[14:15], v[6:7], v[12:13]
	s_mov_b32 s11, 0xbcb184eb
	v_add_f64 v[14:15], v[14:15], s[10:11]
	s_mov_b32 s10, 0x93f65eba
	v_fma_f64 v[12:13], v[6:7], v[14:15], -v[12:13]
	s_mov_b32 s11, 0x3cdee6d8
	v_add_f64 v[12:13], v[12:13], s[10:11]
	s_mov_b32 s10, 0xc297fbeb
	v_fma_f64 v[14:15], v[6:7], v[12:13], -v[14:15]
	;; [unrolled: 4-line block ×27, first 2 shown]
	s_mov_b32 s11, 0x3fe5a84e
	v_add_f64 v[6:7], v[6:7], s[10:11]
	s_mov_b32 s10, 0x652b82fe
	s_mov_b32 s11, 0x3ff71547
	v_mul_f64 v[14:15], |v[8:9]|, s[10:11]
	s_mov_b32 s10, 0xfefa39ef
	v_rndne_f64_e32 v[14:15], v[14:15]
	s_mov_b32 s11, 0xbfe62e42
	v_fma_f64 v[16:17], v[14:15], s[10:11], |v[8:9]|
	s_mov_b32 s10, 0x3b39803f
	s_mov_b32 s11, 0xbc7abc9e
	v_fmac_f64_e32 v[16:17], s[10:11], v[14:15]
	s_mov_b32 s10, 0x6a5dcb37
	v_mov_b32_e32 v18, 0xfca7ab0c
	v_mov_b32_e32 v19, 0x3e928af3
	s_mov_b32 s11, 0x3e5ade15
	v_fmac_f64_e32 v[18:19], s[10:11], v[16:17]
	v_mov_b32_e32 v20, 0x623fde64
	v_mov_b32_e32 v21, 0x3ec71dee
	v_fmac_f64_e32 v[20:21], v[16:17], v[18:19]
	v_mov_b32_e32 v18, 0x7c89e6b0
	v_mov_b32_e32 v19, 0x3efa0199
	;; [unrolled: 3-line block ×8, first 2 shown]
	v_fmac_f64_e32 v[18:19], v[16:17], v[20:21]
	v_fma_f64 v[18:19], v[16:17], v[18:19], 1.0
	s_mov_b32 s10, 0
	v_fma_f64 v[16:17], v[16:17], v[18:19], 1.0
	v_cvt_i32_f64_e32 v14, v[14:15]
	s_mov_b32 s11, 0x40900000
	v_ldexp_f64 v[14:15], v[16:17], v14
	v_mov_b32_e32 v16, 0x7ff00000
	v_cmp_ngt_f64_e64 vcc, |v[8:9]|, s[10:11]
	v_add_f64 v[6:7], v[6:7], -v[12:13]
	v_cndmask_b32_e32 v15, v16, v15, vcc
	v_cndmask_b32_e32 v14, 0, v14, vcc
	v_mul_f64 v[6:7], v[6:7], 0.5
	v_mul_f64 v[6:7], v[14:15], v[6:7]
.LBB5_5:
	s_andn2_saveexec_b64 s[6:7], s[6:7]
	s_cbranch_execz .LBB5_7
; %bb.6:
	s_mov_b32 s10, 0
	v_and_b32_e32 v7, 0x7fffffff, v9
	v_mov_b32_e32 v6, v8
	s_mov_b32 s11, 0x40400000
	v_div_scale_f64 v[12:13], s[12:13], v[6:7], v[6:7], s[10:11]
	v_rcp_f64_e32 v[14:15], v[12:13]
	v_div_scale_f64 v[6:7], vcc, s[10:11], v[6:7], s[10:11]
	v_mov_b32_e32 v18, 0xfca7ab0c
	v_fma_f64 v[16:17], -v[12:13], v[14:15], 1.0
	v_fmac_f64_e32 v[14:15], v[14:15], v[16:17]
	v_fma_f64 v[16:17], -v[12:13], v[14:15], 1.0
	v_fmac_f64_e32 v[14:15], v[14:15], v[16:17]
	v_mul_f64 v[16:17], v[6:7], v[14:15]
	v_fma_f64 v[6:7], -v[12:13], v[16:17], v[6:7]
	v_div_fmas_f64 v[6:7], v[6:7], v[14:15], v[16:17]
	v_div_fixup_f64 v[6:7], v[6:7], |v[8:9]|, s[10:11]
	s_mov_b32 s10, 0x54ca8b19
	v_add_f64 v[6:7], v[6:7], -2.0
	v_mov_b32_e32 v12, 0x66119130
	v_mov_b32_e32 v13, 0xbc5646da
	s_mov_b32 s11, 0xbc60adb7
	v_fmac_f64_e32 v[12:13], s[10:11], v[6:7]
	v_mov_b32_e32 v14, 0x54ca8b19
	v_mov_b32_e32 v15, 0x3c60adb7
	s_mov_b32 s10, 0x12d98421
	v_fmac_f64_e32 v[14:15], v[6:7], v[12:13]
	s_mov_b32 s11, 0x3c89be18
	v_add_f64 v[14:15], v[14:15], s[10:11]
	s_mov_b32 s10, 0x76041cd
	v_fma_f64 v[12:13], v[6:7], v[14:15], -v[12:13]
	s_mov_b32 s11, 0x3c83f3dd
	v_add_f64 v[12:13], v[12:13], s[10:11]
	s_mov_b32 s10, 0xabd21fe4
	v_fma_f64 v[14:15], v[6:7], v[12:13], -v[14:15]
	s_mov_b32 s11, 0xbcb4600b
	v_add_f64 v[14:15], v[14:15], s[10:11]
	s_mov_b32 s10, 0xd908de38
	v_fma_f64 v[12:13], v[6:7], v[14:15], -v[12:13]
	s_mov_b32 s11, 0xbcb8aee7
	v_add_f64 v[12:13], v[12:13], s[10:11]
	s_mov_b32 s10, 0xa3eafb1f
	v_fma_f64 v[14:15], v[6:7], v[12:13], -v[14:15]
	s_mov_b32 s11, 0x3cdfee7d
	v_add_f64 v[14:15], v[14:15], s[10:11]
	s_mov_b32 s10, 0x9094e6d7
	v_fma_f64 v[12:13], v[6:7], v[14:15], -v[12:13]
	s_mov_b32 s11, 0x3cf12a91
	v_add_f64 v[12:13], v[12:13], s[10:11]
	s_mov_b32 s10, 0x7e65629a
	v_fma_f64 v[14:15], v[6:7], v[12:13], -v[14:15]
	s_mov_b32 s11, 0xbd0583fe
	v_add_f64 v[14:15], v[14:15], s[10:11]
	s_mov_b32 s10, 0xcf68bb32
	v_fma_f64 v[12:13], v[6:7], v[14:15], -v[12:13]
	s_mov_b32 s11, 0xbd275d99
	v_add_f64 v[12:13], v[12:13], s[10:11]
	s_mov_b32 s10, 0xd5fc545
	v_fma_f64 v[14:15], v[6:7], v[12:13], -v[14:15]
	s_mov_b32 s11, 0x3d1156ff
	v_add_f64 v[14:15], v[14:15], s[10:11]
	s_mov_b32 s10, 0x6b83c073
	v_fma_f64 v[12:13], v[6:7], v[14:15], -v[12:13]
	s_mov_b32 s11, 0x3d5b1c8c
	v_add_f64 v[12:13], v[12:13], s[10:11]
	s_mov_b32 s10, 0xfa268cec
	v_fma_f64 v[14:15], v[6:7], v[12:13], -v[14:15]
	s_mov_b32 s11, 0x3d694347
	v_add_f64 v[14:15], v[14:15], s[10:11]
	s_mov_b32 s10, 0x3178d66
	v_fma_f64 v[12:13], v[6:7], v[14:15], -v[12:13]
	s_mov_b32 s11, 0xbd7f9043
	v_add_f64 v[12:13], v[12:13], s[10:11]
	s_mov_b32 s10, 0x357e7bf2
	v_fma_f64 v[14:15], v[6:7], v[12:13], -v[14:15]
	s_mov_b32 s11, 0xbdad0fd7
	v_add_f64 v[14:15], v[14:15], s[10:11]
	s_mov_b32 s10, 0x8397425
	v_fma_f64 v[12:13], v[6:7], v[14:15], -v[12:13]
	s_mov_b32 s11, 0xbdc1511d
	v_add_f64 v[12:13], v[12:13], s[10:11]
	s_mov_b32 s10, 0xabe8004f
	v_fma_f64 v[14:15], v[6:7], v[12:13], -v[14:15]
	s_mov_b32 s11, 0x3daa24fe
	v_add_f64 v[14:15], v[14:15], s[10:11]
	s_mov_b32 s10, 0xc0f46f75
	v_fma_f64 v[12:13], v[6:7], v[14:15], -v[12:13]
	s_mov_b32 s11, 0x3e00f9cc
	v_add_f64 v[12:13], v[12:13], s[10:11]
	s_mov_b32 s10, 0xa9225b87
	v_fma_f64 v[14:15], v[6:7], v[12:13], -v[14:15]
	s_mov_b32 s11, 0x3e2d2c64
	v_add_f64 v[14:15], v[14:15], s[10:11]
	s_mov_b32 s10, 0x80d6d56d
	v_fma_f64 v[12:13], v[6:7], v[14:15], -v[12:13]
	s_mov_b32 s11, 0x3e585692
	v_add_f64 v[12:13], v[12:13], s[10:11]
	s_mov_b32 s10, 0xd9cd616e
	v_fma_f64 v[14:15], v[6:7], v[12:13], -v[14:15]
	s_mov_b32 s11, 0x3e8b8007
	v_add_f64 v[14:15], v[14:15], s[10:11]
	s_mov_b32 s10, 0xc101c586
	v_fma_f64 v[12:13], v[6:7], v[14:15], -v[12:13]
	s_mov_b32 s11, 0x3ec8412b
	v_add_f64 v[12:13], v[12:13], s[10:11]
	s_mov_b32 s10, 0x78999e52
	v_fma_f64 v[14:15], v[6:7], v[12:13], -v[14:15]
	s_mov_b32 s11, 0x3f120fa3
	v_add_f64 v[14:15], v[14:15], s[10:11]
	s_mov_b32 s10, 0xa2e59049
	v_fma_f64 v[12:13], v[6:7], v[14:15], -v[12:13]
	s_mov_b32 s11, 0x3f6b998c
	v_add_f64 v[12:13], v[12:13], s[10:11]
	s_mov_b32 s10, 0xaca809cb
	v_fma_f64 v[6:7], v[6:7], v[12:13], -v[14:15]
	s_mov_b32 s11, 0x3fe9be62
	v_add_f64 v[6:7], v[6:7], s[10:11]
	s_mov_b32 s10, 0x652b82fe
	s_mov_b32 s11, 0x3ff71547
	v_mul_f64 v[12:13], |v[8:9]|, s[10:11]
	s_mov_b32 s10, 0xfefa39ef
	v_rndne_f64_e32 v[12:13], v[12:13]
	s_mov_b32 s11, 0xbfe62e42
	v_fma_f64 v[16:17], v[12:13], s[10:11], |v[8:9]|
	s_mov_b32 s10, 0x3b39803f
	s_mov_b32 s11, 0xbc7abc9e
	v_fmac_f64_e32 v[16:17], s[10:11], v[12:13]
	s_mov_b32 s10, 0x6a5dcb37
	v_mov_b32_e32 v19, 0x3e928af3
	s_mov_b32 s11, 0x3e5ade15
	v_fmac_f64_e32 v[18:19], s[10:11], v[16:17]
	v_mov_b32_e32 v20, 0x623fde64
	v_mov_b32_e32 v21, 0x3ec71dee
	v_fmac_f64_e32 v[20:21], v[16:17], v[18:19]
	v_mov_b32_e32 v18, 0x7c89e6b0
	v_mov_b32_e32 v19, 0x3efa0199
	;; [unrolled: 3-line block ×8, first 2 shown]
	v_fmac_f64_e32 v[18:19], v[16:17], v[20:21]
	s_mov_b32 s10, 0
	v_fma_f64 v[18:19], v[16:17], v[18:19], 1.0
	s_mov_b32 s11, 0x40900000
	v_fma_f64 v[16:17], v[16:17], v[18:19], 1.0
	v_cvt_i32_f64_e32 v12, v[12:13]
	v_cmp_ngt_f64_e64 vcc, |v[8:9]|, s[10:11]
	s_mov_b32 s10, 0
	v_ldexp_f64 v[12:13], v[16:17], v12
	v_mov_b32_e32 v16, 0x7ff00000
	s_brev_b32 s11, 8
	v_cndmask_b32_e32 v13, v16, v13, vcc
	v_cndmask_b32_e32 v12, 0, v12, vcc
	v_cmp_lt_f64_e64 vcc, |v[8:9]|, s[10:11]
	v_cndmask_b32_e64 v16, 0, 1, vcc
	v_lshlrev_b32_e32 v16, 8, v16
	v_ldexp_f64 v[8:9], |v[8:9]|, v16
	v_rsq_f64_e32 v[16:17], v[8:9]
	v_add_f64 v[6:7], v[6:7], -v[14:15]
	v_mul_f64 v[6:7], v[6:7], 0.5
	v_mul_f64 v[6:7], v[12:13], v[6:7]
	v_mul_f64 v[12:13], v[8:9], v[16:17]
	v_mul_f64 v[14:15], v[16:17], 0.5
	v_fma_f64 v[16:17], -v[14:15], v[12:13], 0.5
	v_fmac_f64_e32 v[12:13], v[12:13], v[16:17]
	v_fma_f64 v[18:19], -v[12:13], v[12:13], v[8:9]
	v_fmac_f64_e32 v[14:15], v[14:15], v[16:17]
	v_fmac_f64_e32 v[12:13], v[18:19], v[14:15]
	v_fma_f64 v[16:17], -v[12:13], v[12:13], v[8:9]
	v_fmac_f64_e32 v[12:13], v[16:17], v[14:15]
	v_mov_b32_e32 v14, 0xffffff80
	v_cndmask_b32_e32 v14, 0, v14, vcc
	v_ldexp_f64 v[12:13], v[12:13], v14
	v_mov_b32_e32 v14, 0x260
	v_cmp_class_f64_e32 vcc, v[8:9], v14
	v_cndmask_b32_e32 v9, v13, v9, vcc
	v_cndmask_b32_e32 v8, v12, v8, vcc
	v_div_scale_f64 v[12:13], s[10:11], v[8:9], v[8:9], v[6:7]
	v_rcp_f64_e32 v[14:15], v[12:13]
	v_fma_f64 v[16:17], -v[12:13], v[14:15], 1.0
	v_fmac_f64_e32 v[14:15], v[14:15], v[16:17]
	v_fma_f64 v[16:17], -v[12:13], v[14:15], 1.0
	v_fmac_f64_e32 v[14:15], v[14:15], v[16:17]
	v_div_scale_f64 v[16:17], vcc, v[6:7], v[8:9], v[6:7]
	v_mul_f64 v[18:19], v[16:17], v[14:15]
	v_fma_f64 v[12:13], -v[12:13], v[18:19], v[16:17]
	s_nop 1
	v_div_fmas_f64 v[12:13], v[12:13], v[14:15], v[18:19]
	v_div_fixup_f64 v[6:7], v[12:13], v[8:9], v[6:7]
.LBB5_7:
	s_or_b64 exec, exec, s[6:7]
	s_mov_b32 s6, 0
	s_mov_b32 s7, 0x40200000
	v_cmp_le_f64_e64 s[6:7], |v[10:11]|, s[6:7]
	s_and_saveexec_b64 s[10:11], s[6:7]
	s_xor_b64 s[6:7], exec, s[10:11]
	s_cbranch_execz .LBB5_9
; %bb.8:
	s_mov_b32 s10, 0x2134d0ef
	v_fma_f64 v[8:9], |v[10:11]|, 0.5, -2.0
	v_mov_b32_e32 v12, 0x977da589
	v_mov_b32_e32 v13, 0x3c833362
	s_mov_b32 s11, 0xbc545cb7
	v_fmac_f64_e32 v[12:13], s[10:11], v[8:9]
	v_mov_b32_e32 v14, 0x2134d0ef
	v_mov_b32_e32 v15, 0x3c545cb7
	s_mov_b32 s10, 0x721ebbb4
	v_fmac_f64_e32 v[14:15], v[8:9], v[12:13]
	s_mov_b32 s11, 0xbcb184eb
	v_add_f64 v[14:15], v[14:15], s[10:11]
	s_mov_b32 s10, 0x93f65eba
	v_fma_f64 v[12:13], v[8:9], v[14:15], -v[12:13]
	s_mov_b32 s11, 0x3cdee6d8
	v_add_f64 v[12:13], v[12:13], s[10:11]
	s_mov_b32 s10, 0xc297fbeb
	v_fma_f64 v[14:15], v[8:9], v[12:13], -v[14:15]
	;; [unrolled: 4-line block ×27, first 2 shown]
	s_mov_b32 s11, 0x3fe5a84e
	v_add_f64 v[8:9], v[8:9], s[10:11]
	s_mov_b32 s10, 0x652b82fe
	s_mov_b32 s11, 0x3ff71547
	v_mul_f64 v[14:15], |v[10:11]|, s[10:11]
	s_mov_b32 s10, 0xfefa39ef
	v_rndne_f64_e32 v[14:15], v[14:15]
	s_mov_b32 s11, 0xbfe62e42
	v_fma_f64 v[16:17], v[14:15], s[10:11], |v[10:11]|
	s_mov_b32 s10, 0x3b39803f
	s_mov_b32 s11, 0xbc7abc9e
	v_fmac_f64_e32 v[16:17], s[10:11], v[14:15]
	s_mov_b32 s10, 0x6a5dcb37
	v_mov_b32_e32 v18, 0xfca7ab0c
	v_mov_b32_e32 v19, 0x3e928af3
	s_mov_b32 s11, 0x3e5ade15
	v_fmac_f64_e32 v[18:19], s[10:11], v[16:17]
	v_mov_b32_e32 v20, 0x623fde64
	v_mov_b32_e32 v21, 0x3ec71dee
	v_fmac_f64_e32 v[20:21], v[16:17], v[18:19]
	v_mov_b32_e32 v18, 0x7c89e6b0
	v_mov_b32_e32 v19, 0x3efa0199
	;; [unrolled: 3-line block ×8, first 2 shown]
	v_fmac_f64_e32 v[18:19], v[16:17], v[20:21]
	v_fma_f64 v[18:19], v[16:17], v[18:19], 1.0
	s_mov_b32 s10, 0
	v_fma_f64 v[16:17], v[16:17], v[18:19], 1.0
	v_cvt_i32_f64_e32 v14, v[14:15]
	s_mov_b32 s11, 0x40900000
	v_ldexp_f64 v[14:15], v[16:17], v14
	v_mov_b32_e32 v16, 0x7ff00000
	v_cmp_ngt_f64_e64 vcc, |v[10:11]|, s[10:11]
	v_add_f64 v[8:9], v[8:9], -v[12:13]
	v_cndmask_b32_e32 v11, v16, v15, vcc
	v_cndmask_b32_e32 v10, 0, v14, vcc
	v_mul_f64 v[8:9], v[8:9], 0.5
	v_mul_f64 v[8:9], v[10:11], v[8:9]
                                        ; implicit-def: $vgpr10_vgpr11
.LBB5_9:
	s_andn2_saveexec_b64 s[6:7], s[6:7]
	s_cbranch_execz .LBB5_11
; %bb.10:
	s_mov_b32 s10, 0
	v_and_b32_e32 v9, 0x7fffffff, v11
	v_mov_b32_e32 v8, v10
	s_mov_b32 s11, 0x40400000
	v_div_scale_f64 v[12:13], s[12:13], v[8:9], v[8:9], s[10:11]
	v_rcp_f64_e32 v[14:15], v[12:13]
	v_div_scale_f64 v[8:9], vcc, s[10:11], v[8:9], s[10:11]
	v_mov_b32_e32 v18, 0xfca7ab0c
	v_fma_f64 v[16:17], -v[12:13], v[14:15], 1.0
	v_fmac_f64_e32 v[14:15], v[14:15], v[16:17]
	v_fma_f64 v[16:17], -v[12:13], v[14:15], 1.0
	v_fmac_f64_e32 v[14:15], v[14:15], v[16:17]
	v_mul_f64 v[16:17], v[8:9], v[14:15]
	v_fma_f64 v[8:9], -v[12:13], v[16:17], v[8:9]
	v_div_fmas_f64 v[8:9], v[8:9], v[14:15], v[16:17]
	v_div_fixup_f64 v[8:9], v[8:9], |v[10:11]|, s[10:11]
	s_mov_b32 s10, 0x54ca8b19
	v_add_f64 v[8:9], v[8:9], -2.0
	v_mov_b32_e32 v12, 0x66119130
	v_mov_b32_e32 v13, 0xbc5646da
	s_mov_b32 s11, 0xbc60adb7
	v_fmac_f64_e32 v[12:13], s[10:11], v[8:9]
	v_mov_b32_e32 v14, 0x54ca8b19
	v_mov_b32_e32 v15, 0x3c60adb7
	s_mov_b32 s10, 0x12d98421
	v_fmac_f64_e32 v[14:15], v[8:9], v[12:13]
	s_mov_b32 s11, 0x3c89be18
	v_add_f64 v[14:15], v[14:15], s[10:11]
	s_mov_b32 s10, 0x76041cd
	v_fma_f64 v[12:13], v[8:9], v[14:15], -v[12:13]
	s_mov_b32 s11, 0x3c83f3dd
	v_add_f64 v[12:13], v[12:13], s[10:11]
	s_mov_b32 s10, 0xabd21fe4
	v_fma_f64 v[14:15], v[8:9], v[12:13], -v[14:15]
	;; [unrolled: 4-line block ×22, first 2 shown]
	s_mov_b32 s11, 0x3fe9be62
	v_add_f64 v[8:9], v[8:9], s[10:11]
	s_mov_b32 s10, 0x652b82fe
	s_mov_b32 s11, 0x3ff71547
	v_mul_f64 v[12:13], |v[10:11]|, s[10:11]
	s_mov_b32 s10, 0xfefa39ef
	v_rndne_f64_e32 v[12:13], v[12:13]
	s_mov_b32 s11, 0xbfe62e42
	v_fma_f64 v[16:17], v[12:13], s[10:11], |v[10:11]|
	s_mov_b32 s10, 0x3b39803f
	s_mov_b32 s11, 0xbc7abc9e
	v_fmac_f64_e32 v[16:17], s[10:11], v[12:13]
	s_mov_b32 s10, 0x6a5dcb37
	v_mov_b32_e32 v19, 0x3e928af3
	s_mov_b32 s11, 0x3e5ade15
	v_fmac_f64_e32 v[18:19], s[10:11], v[16:17]
	v_mov_b32_e32 v20, 0x623fde64
	v_mov_b32_e32 v21, 0x3ec71dee
	v_fmac_f64_e32 v[20:21], v[16:17], v[18:19]
	v_mov_b32_e32 v18, 0x7c89e6b0
	v_mov_b32_e32 v19, 0x3efa0199
	;; [unrolled: 3-line block ×8, first 2 shown]
	v_fmac_f64_e32 v[18:19], v[16:17], v[20:21]
	s_mov_b32 s10, 0
	v_fma_f64 v[18:19], v[16:17], v[18:19], 1.0
	s_mov_b32 s11, 0x40900000
	v_fma_f64 v[16:17], v[16:17], v[18:19], 1.0
	v_cvt_i32_f64_e32 v12, v[12:13]
	v_cmp_ngt_f64_e64 vcc, |v[10:11]|, s[10:11]
	s_mov_b32 s10, 0
	v_ldexp_f64 v[12:13], v[16:17], v12
	v_mov_b32_e32 v16, 0x7ff00000
	s_brev_b32 s11, 8
	v_cndmask_b32_e32 v13, v16, v13, vcc
	v_cndmask_b32_e32 v12, 0, v12, vcc
	v_cmp_lt_f64_e64 vcc, |v[10:11]|, s[10:11]
	v_cndmask_b32_e64 v16, 0, 1, vcc
	v_lshlrev_b32_e32 v16, 8, v16
	v_ldexp_f64 v[10:11], |v[10:11]|, v16
	v_rsq_f64_e32 v[16:17], v[10:11]
	v_add_f64 v[8:9], v[8:9], -v[14:15]
	v_mul_f64 v[8:9], v[8:9], 0.5
	v_mul_f64 v[8:9], v[12:13], v[8:9]
	v_mul_f64 v[12:13], v[10:11], v[16:17]
	v_mul_f64 v[14:15], v[16:17], 0.5
	v_fma_f64 v[16:17], -v[14:15], v[12:13], 0.5
	v_fmac_f64_e32 v[12:13], v[12:13], v[16:17]
	v_fma_f64 v[18:19], -v[12:13], v[12:13], v[10:11]
	v_fmac_f64_e32 v[14:15], v[14:15], v[16:17]
	v_fmac_f64_e32 v[12:13], v[18:19], v[14:15]
	v_fma_f64 v[16:17], -v[12:13], v[12:13], v[10:11]
	v_fmac_f64_e32 v[12:13], v[16:17], v[14:15]
	v_mov_b32_e32 v14, 0xffffff80
	v_cndmask_b32_e32 v14, 0, v14, vcc
	v_ldexp_f64 v[12:13], v[12:13], v14
	v_mov_b32_e32 v14, 0x260
	v_cmp_class_f64_e32 vcc, v[10:11], v14
	v_cndmask_b32_e32 v11, v13, v11, vcc
	v_cndmask_b32_e32 v10, v12, v10, vcc
	v_div_scale_f64 v[12:13], s[10:11], v[10:11], v[10:11], v[8:9]
	v_rcp_f64_e32 v[14:15], v[12:13]
	v_fma_f64 v[16:17], -v[12:13], v[14:15], 1.0
	v_fmac_f64_e32 v[14:15], v[14:15], v[16:17]
	v_fma_f64 v[16:17], -v[12:13], v[14:15], 1.0
	v_fmac_f64_e32 v[14:15], v[14:15], v[16:17]
	v_div_scale_f64 v[16:17], vcc, v[8:9], v[10:11], v[8:9]
	v_mul_f64 v[18:19], v[16:17], v[14:15]
	v_fma_f64 v[12:13], -v[12:13], v[18:19], v[16:17]
	s_nop 1
	v_div_fmas_f64 v[12:13], v[12:13], v[14:15], v[18:19]
	v_div_fixup_f64 v[8:9], v[12:13], v[10:11], v[8:9]
.LBB5_11:
	s_or_b64 exec, exec, s[6:7]
	s_mov_b32 s6, 0
	s_mov_b32 s7, 0x40200000
	s_waitcnt vmcnt(0)
	v_cmp_le_f64_e64 s[6:7], |v[2:3]|, s[6:7]
                                        ; implicit-def: $vgpr10_vgpr11
	s_and_saveexec_b64 s[10:11], s[6:7]
	s_xor_b64 s[6:7], exec, s[10:11]
	s_cbranch_execz .LBB5_13
; %bb.12:
	s_mov_b32 s10, 0x2134d0ef
	v_fma_f64 v[10:11], |v[2:3]|, 0.5, -2.0
	v_mov_b32_e32 v12, 0x977da589
	v_mov_b32_e32 v13, 0x3c833362
	s_mov_b32 s11, 0xbc545cb7
	v_fmac_f64_e32 v[12:13], s[10:11], v[10:11]
	v_mov_b32_e32 v14, 0x2134d0ef
	v_mov_b32_e32 v15, 0x3c545cb7
	s_mov_b32 s10, 0x721ebbb4
	v_fmac_f64_e32 v[14:15], v[10:11], v[12:13]
	s_mov_b32 s11, 0xbcb184eb
	v_add_f64 v[14:15], v[14:15], s[10:11]
	s_mov_b32 s10, 0x93f65eba
	v_fma_f64 v[12:13], v[10:11], v[14:15], -v[12:13]
	s_mov_b32 s11, 0x3cdee6d8
	v_add_f64 v[12:13], v[12:13], s[10:11]
	s_mov_b32 s10, 0xc297fbeb
	v_fma_f64 v[14:15], v[10:11], v[12:13], -v[14:15]
	s_mov_b32 s11, 0xbd0a5022
	v_add_f64 v[14:15], v[14:15], s[10:11]
	s_mov_b32 s10, 0x4b262627
	v_fma_f64 v[12:13], v[10:11], v[14:15], -v[12:13]
	s_mov_b32 s11, 0x3d359b46
	v_add_f64 v[12:13], v[12:13], s[10:11]
	s_mov_b32 s10, 0x62ee1af0
	v_fma_f64 v[14:15], v[10:11], v[12:13], -v[14:15]
	s_mov_b32 s11, 0xbd61164c
	v_add_f64 v[14:15], v[14:15], s[10:11]
	s_mov_b32 s10, 0xe19bd324
	v_fma_f64 v[12:13], v[10:11], v[14:15], -v[12:13]
	s_mov_b32 s11, 0x3d89fe2f
	v_add_f64 v[12:13], v[12:13], s[10:11]
	s_mov_b32 s10, 0x7a946abc
	v_fma_f64 v[14:15], v[10:11], v[12:13], -v[14:15]
	s_mov_b32 s11, 0xbdb2fc95
	v_add_f64 v[14:15], v[14:15], s[10:11]
	s_mov_b32 s10, 0xcc743c10
	v_fma_f64 v[12:13], v[10:11], v[14:15], -v[12:13]
	s_mov_b32 s11, 0x3dda98be
	v_add_f64 v[12:13], v[12:13], s[10:11]
	s_mov_b32 s10, 0x13ae9556
	v_fma_f64 v[14:15], v[10:11], v[12:13], -v[14:15]
	s_mov_b32 s11, 0xbe01d4fe
	v_add_f64 v[14:15], v[14:15], s[10:11]
	s_mov_b32 s10, 0xa454cb34
	v_fma_f64 v[12:13], v[10:11], v[14:15], -v[12:13]
	s_mov_b32 s11, 0x3e26d903
	v_add_f64 v[12:13], v[12:13], s[10:11]
	s_mov_b32 s10, 0x8c0b30ab
	v_fma_f64 v[14:15], v[10:11], v[12:13], -v[14:15]
	s_mov_b32 s11, 0xbe4beaf6
	v_add_f64 v[14:15], v[14:15], s[10:11]
	s_mov_b32 s10, 0x9d4d6435
	v_fma_f64 v[12:13], v[10:11], v[14:15], -v[12:13]
	s_mov_b32 s11, 0x3e703b76
	v_add_f64 v[12:13], v[12:13], s[10:11]
	s_mov_b32 s10, 0x8f227f8d
	v_fma_f64 v[14:15], v[10:11], v[12:13], -v[14:15]
	s_mov_b32 s11, 0xbe91ec63
	v_add_f64 v[14:15], v[14:15], s[10:11]
	s_mov_b32 s10, 0x978cf4ac
	v_fma_f64 v[12:13], v[10:11], v[14:15], -v[12:13]
	s_mov_b32 s11, 0x3eb2bf24
	v_add_f64 v[12:13], v[12:13], s[10:11]
	s_mov_b32 s10, 0xcba56427
	v_fma_f64 v[14:15], v[10:11], v[12:13], -v[14:15]
	s_mov_b32 s11, 0xbed2866f
	v_add_f64 v[14:15], v[14:15], s[10:11]
	s_mov_b32 s10, 0xbe9a2859
	v_fma_f64 v[12:13], v[10:11], v[14:15], -v[12:13]
	s_mov_b32 s11, 0x3ef13f58
	v_add_f64 v[12:13], v[12:13], s[10:11]
	s_mov_b32 s10, 0x59c41d5a
	v_fma_f64 v[14:15], v[10:11], v[12:13], -v[14:15]
	s_mov_b32 s11, 0xbf0e2b26
	v_add_f64 v[14:15], v[14:15], s[10:11]
	s_mov_b32 s10, 0x74107cab
	v_fma_f64 v[12:13], v[10:11], v[14:15], -v[12:13]
	s_mov_b32 s11, 0x3f28b51b
	v_add_f64 v[12:13], v[12:13], s[10:11]
	s_mov_b32 s10, 0x1f15eb52
	v_fma_f64 v[14:15], v[10:11], v[12:13], -v[14:15]
	s_mov_b32 s11, 0xbf42e2fd
	v_add_f64 v[14:15], v[14:15], s[10:11]
	s_mov_b32 s10, 0x8a12100e
	v_fma_f64 v[12:13], v[10:11], v[14:15], -v[12:13]
	s_mov_b32 s11, 0x3f5adc75
	v_add_f64 v[12:13], v[12:13], s[10:11]
	s_mov_b32 s10, 0x201aa849
	v_fma_f64 v[14:15], v[10:11], v[12:13], -v[14:15]
	s_mov_b32 s11, 0xbf71b65e
	v_add_f64 v[14:15], v[14:15], s[10:11]
	s_mov_b32 s10, 0xf3dde3dd
	v_fma_f64 v[12:13], v[10:11], v[14:15], -v[12:13]
	s_mov_b32 s11, 0x3f859961
	v_add_f64 v[12:13], v[12:13], s[10:11]
	s_mov_b32 s10, 0xf121b6f0
	v_fma_f64 v[14:15], v[10:11], v[12:13], -v[14:15]
	s_mov_b32 s11, 0xbf984e9e
	v_add_f64 v[14:15], v[14:15], s[10:11]
	s_mov_b32 s10, 0xcea8a32d
	v_fma_f64 v[12:13], v[10:11], v[14:15], -v[12:13]
	s_mov_b32 s11, 0x3fa93e8a
	v_add_f64 v[12:13], v[12:13], s[10:11]
	s_mov_b32 s10, 0x342d06ea
	v_fma_f64 v[14:15], v[10:11], v[12:13], -v[14:15]
	s_mov_b32 s11, 0xbfb84b70
	v_add_f64 v[14:15], v[14:15], s[10:11]
	s_mov_b32 s10, 0x77ac88c0
	v_fma_f64 v[12:13], v[10:11], v[14:15], -v[12:13]
	s_mov_b32 s11, 0x3fc5f7ac
	v_add_f64 v[12:13], v[12:13], s[10:11]
	s_mov_b32 s10, 0xc057cd8d
	v_fma_f64 v[14:15], v[10:11], v[12:13], -v[14:15]
	s_mov_b32 s11, 0xbfd37feb
	v_add_f64 v[14:15], v[14:15], s[10:11]
	s_mov_b32 s10, 0x9035a22a
	v_fma_f64 v[10:11], v[10:11], v[14:15], -v[12:13]
	s_mov_b32 s11, 0x3fe5a84e
	v_add_f64 v[10:11], v[10:11], s[10:11]
	s_mov_b32 s10, 0x652b82fe
	s_mov_b32 s11, 0x3ff71547
	v_mul_f64 v[14:15], |v[2:3]|, s[10:11]
	s_mov_b32 s10, 0xfefa39ef
	v_rndne_f64_e32 v[14:15], v[14:15]
	s_mov_b32 s11, 0xbfe62e42
	v_fma_f64 v[16:17], v[14:15], s[10:11], |v[2:3]|
	s_mov_b32 s10, 0x3b39803f
	s_mov_b32 s11, 0xbc7abc9e
	v_fmac_f64_e32 v[16:17], s[10:11], v[14:15]
	s_mov_b32 s10, 0x6a5dcb37
	v_mov_b32_e32 v18, 0xfca7ab0c
	v_mov_b32_e32 v19, 0x3e928af3
	s_mov_b32 s11, 0x3e5ade15
	v_fmac_f64_e32 v[18:19], s[10:11], v[16:17]
	v_mov_b32_e32 v20, 0x623fde64
	v_mov_b32_e32 v21, 0x3ec71dee
	v_fmac_f64_e32 v[20:21], v[16:17], v[18:19]
	v_mov_b32_e32 v18, 0x7c89e6b0
	v_mov_b32_e32 v19, 0x3efa0199
	;; [unrolled: 3-line block ×8, first 2 shown]
	v_fmac_f64_e32 v[18:19], v[16:17], v[20:21]
	v_fma_f64 v[18:19], v[16:17], v[18:19], 1.0
	s_mov_b32 s10, 0
	v_fma_f64 v[16:17], v[16:17], v[18:19], 1.0
	v_cvt_i32_f64_e32 v14, v[14:15]
	s_mov_b32 s11, 0x40900000
	v_ldexp_f64 v[14:15], v[16:17], v14
	v_mov_b32_e32 v16, 0x7ff00000
	v_cmp_ngt_f64_e64 vcc, |v[2:3]|, s[10:11]
	v_add_f64 v[10:11], v[10:11], -v[12:13]
	v_cndmask_b32_e32 v15, v16, v15, vcc
	v_cndmask_b32_e32 v14, 0, v14, vcc
	v_mul_f64 v[10:11], v[10:11], 0.5
	v_mul_f64 v[10:11], v[14:15], v[10:11]
.LBB5_13:
	s_andn2_saveexec_b64 s[6:7], s[6:7]
	s_cbranch_execz .LBB5_15
; %bb.14:
	s_mov_b32 s10, 0
	v_and_b32_e32 v11, 0x7fffffff, v3
	v_mov_b32_e32 v10, v2
	s_mov_b32 s11, 0x40400000
	v_div_scale_f64 v[12:13], s[12:13], v[10:11], v[10:11], s[10:11]
	v_rcp_f64_e32 v[14:15], v[12:13]
	v_div_scale_f64 v[10:11], vcc, s[10:11], v[10:11], s[10:11]
	v_mov_b32_e32 v18, 0xfca7ab0c
	v_fma_f64 v[16:17], -v[12:13], v[14:15], 1.0
	v_fmac_f64_e32 v[14:15], v[14:15], v[16:17]
	v_fma_f64 v[16:17], -v[12:13], v[14:15], 1.0
	v_fmac_f64_e32 v[14:15], v[14:15], v[16:17]
	v_mul_f64 v[16:17], v[10:11], v[14:15]
	v_fma_f64 v[10:11], -v[12:13], v[16:17], v[10:11]
	v_div_fmas_f64 v[10:11], v[10:11], v[14:15], v[16:17]
	v_div_fixup_f64 v[10:11], v[10:11], |v[2:3]|, s[10:11]
	s_mov_b32 s10, 0x54ca8b19
	v_add_f64 v[10:11], v[10:11], -2.0
	v_mov_b32_e32 v12, 0x66119130
	v_mov_b32_e32 v13, 0xbc5646da
	s_mov_b32 s11, 0xbc60adb7
	v_fmac_f64_e32 v[12:13], s[10:11], v[10:11]
	v_mov_b32_e32 v14, 0x54ca8b19
	v_mov_b32_e32 v15, 0x3c60adb7
	s_mov_b32 s10, 0x12d98421
	v_fmac_f64_e32 v[14:15], v[10:11], v[12:13]
	s_mov_b32 s11, 0x3c89be18
	v_add_f64 v[14:15], v[14:15], s[10:11]
	s_mov_b32 s10, 0x76041cd
	v_fma_f64 v[12:13], v[10:11], v[14:15], -v[12:13]
	s_mov_b32 s11, 0x3c83f3dd
	v_add_f64 v[12:13], v[12:13], s[10:11]
	s_mov_b32 s10, 0xabd21fe4
	v_fma_f64 v[14:15], v[10:11], v[12:13], -v[14:15]
	s_mov_b32 s11, 0xbcb4600b
	v_add_f64 v[14:15], v[14:15], s[10:11]
	s_mov_b32 s10, 0xd908de38
	v_fma_f64 v[12:13], v[10:11], v[14:15], -v[12:13]
	s_mov_b32 s11, 0xbcb8aee7
	v_add_f64 v[12:13], v[12:13], s[10:11]
	s_mov_b32 s10, 0xa3eafb1f
	v_fma_f64 v[14:15], v[10:11], v[12:13], -v[14:15]
	s_mov_b32 s11, 0x3cdfee7d
	v_add_f64 v[14:15], v[14:15], s[10:11]
	s_mov_b32 s10, 0x9094e6d7
	v_fma_f64 v[12:13], v[10:11], v[14:15], -v[12:13]
	s_mov_b32 s11, 0x3cf12a91
	v_add_f64 v[12:13], v[12:13], s[10:11]
	s_mov_b32 s10, 0x7e65629a
	v_fma_f64 v[14:15], v[10:11], v[12:13], -v[14:15]
	s_mov_b32 s11, 0xbd0583fe
	v_add_f64 v[14:15], v[14:15], s[10:11]
	s_mov_b32 s10, 0xcf68bb32
	v_fma_f64 v[12:13], v[10:11], v[14:15], -v[12:13]
	s_mov_b32 s11, 0xbd275d99
	v_add_f64 v[12:13], v[12:13], s[10:11]
	s_mov_b32 s10, 0xd5fc545
	v_fma_f64 v[14:15], v[10:11], v[12:13], -v[14:15]
	s_mov_b32 s11, 0x3d1156ff
	v_add_f64 v[14:15], v[14:15], s[10:11]
	s_mov_b32 s10, 0x6b83c073
	v_fma_f64 v[12:13], v[10:11], v[14:15], -v[12:13]
	s_mov_b32 s11, 0x3d5b1c8c
	v_add_f64 v[12:13], v[12:13], s[10:11]
	s_mov_b32 s10, 0xfa268cec
	v_fma_f64 v[14:15], v[10:11], v[12:13], -v[14:15]
	s_mov_b32 s11, 0x3d694347
	v_add_f64 v[14:15], v[14:15], s[10:11]
	s_mov_b32 s10, 0x3178d66
	v_fma_f64 v[12:13], v[10:11], v[14:15], -v[12:13]
	s_mov_b32 s11, 0xbd7f9043
	v_add_f64 v[12:13], v[12:13], s[10:11]
	s_mov_b32 s10, 0x357e7bf2
	v_fma_f64 v[14:15], v[10:11], v[12:13], -v[14:15]
	s_mov_b32 s11, 0xbdad0fd7
	v_add_f64 v[14:15], v[14:15], s[10:11]
	s_mov_b32 s10, 0x8397425
	v_fma_f64 v[12:13], v[10:11], v[14:15], -v[12:13]
	s_mov_b32 s11, 0xbdc1511d
	v_add_f64 v[12:13], v[12:13], s[10:11]
	s_mov_b32 s10, 0xabe8004f
	v_fma_f64 v[14:15], v[10:11], v[12:13], -v[14:15]
	s_mov_b32 s11, 0x3daa24fe
	v_add_f64 v[14:15], v[14:15], s[10:11]
	s_mov_b32 s10, 0xc0f46f75
	v_fma_f64 v[12:13], v[10:11], v[14:15], -v[12:13]
	s_mov_b32 s11, 0x3e00f9cc
	v_add_f64 v[12:13], v[12:13], s[10:11]
	s_mov_b32 s10, 0xa9225b87
	v_fma_f64 v[14:15], v[10:11], v[12:13], -v[14:15]
	s_mov_b32 s11, 0x3e2d2c64
	v_add_f64 v[14:15], v[14:15], s[10:11]
	s_mov_b32 s10, 0x80d6d56d
	v_fma_f64 v[12:13], v[10:11], v[14:15], -v[12:13]
	s_mov_b32 s11, 0x3e585692
	v_add_f64 v[12:13], v[12:13], s[10:11]
	s_mov_b32 s10, 0xd9cd616e
	v_fma_f64 v[14:15], v[10:11], v[12:13], -v[14:15]
	s_mov_b32 s11, 0x3e8b8007
	v_add_f64 v[14:15], v[14:15], s[10:11]
	s_mov_b32 s10, 0xc101c586
	v_fma_f64 v[12:13], v[10:11], v[14:15], -v[12:13]
	s_mov_b32 s11, 0x3ec8412b
	v_add_f64 v[12:13], v[12:13], s[10:11]
	s_mov_b32 s10, 0x78999e52
	v_fma_f64 v[14:15], v[10:11], v[12:13], -v[14:15]
	s_mov_b32 s11, 0x3f120fa3
	v_add_f64 v[14:15], v[14:15], s[10:11]
	s_mov_b32 s10, 0xa2e59049
	v_fma_f64 v[12:13], v[10:11], v[14:15], -v[12:13]
	s_mov_b32 s11, 0x3f6b998c
	v_add_f64 v[12:13], v[12:13], s[10:11]
	s_mov_b32 s10, 0xaca809cb
	v_fma_f64 v[10:11], v[10:11], v[12:13], -v[14:15]
	s_mov_b32 s11, 0x3fe9be62
	v_add_f64 v[10:11], v[10:11], s[10:11]
	s_mov_b32 s10, 0x652b82fe
	s_mov_b32 s11, 0x3ff71547
	v_mul_f64 v[12:13], |v[2:3]|, s[10:11]
	s_mov_b32 s10, 0xfefa39ef
	v_rndne_f64_e32 v[12:13], v[12:13]
	s_mov_b32 s11, 0xbfe62e42
	v_fma_f64 v[16:17], v[12:13], s[10:11], |v[2:3]|
	s_mov_b32 s10, 0x3b39803f
	s_mov_b32 s11, 0xbc7abc9e
	v_fmac_f64_e32 v[16:17], s[10:11], v[12:13]
	s_mov_b32 s10, 0x6a5dcb37
	v_mov_b32_e32 v19, 0x3e928af3
	s_mov_b32 s11, 0x3e5ade15
	v_fmac_f64_e32 v[18:19], s[10:11], v[16:17]
	v_mov_b32_e32 v20, 0x623fde64
	v_mov_b32_e32 v21, 0x3ec71dee
	v_fmac_f64_e32 v[20:21], v[16:17], v[18:19]
	v_mov_b32_e32 v18, 0x7c89e6b0
	v_mov_b32_e32 v19, 0x3efa0199
	;; [unrolled: 3-line block ×8, first 2 shown]
	v_fmac_f64_e32 v[18:19], v[16:17], v[20:21]
	s_mov_b32 s10, 0
	v_fma_f64 v[18:19], v[16:17], v[18:19], 1.0
	s_mov_b32 s11, 0x40900000
	v_fma_f64 v[16:17], v[16:17], v[18:19], 1.0
	v_cvt_i32_f64_e32 v12, v[12:13]
	v_cmp_ngt_f64_e64 vcc, |v[2:3]|, s[10:11]
	s_mov_b32 s10, 0
	v_ldexp_f64 v[12:13], v[16:17], v12
	v_mov_b32_e32 v16, 0x7ff00000
	s_brev_b32 s11, 8
	v_cndmask_b32_e32 v13, v16, v13, vcc
	v_cndmask_b32_e32 v12, 0, v12, vcc
	v_cmp_lt_f64_e64 vcc, |v[2:3]|, s[10:11]
	v_cndmask_b32_e64 v16, 0, 1, vcc
	v_lshlrev_b32_e32 v16, 8, v16
	v_ldexp_f64 v[2:3], |v[2:3]|, v16
	v_rsq_f64_e32 v[16:17], v[2:3]
	v_add_f64 v[10:11], v[10:11], -v[14:15]
	v_mul_f64 v[10:11], v[10:11], 0.5
	v_mul_f64 v[10:11], v[12:13], v[10:11]
	v_mul_f64 v[12:13], v[2:3], v[16:17]
	v_mul_f64 v[14:15], v[16:17], 0.5
	v_fma_f64 v[16:17], -v[14:15], v[12:13], 0.5
	v_fmac_f64_e32 v[12:13], v[12:13], v[16:17]
	v_fma_f64 v[18:19], -v[12:13], v[12:13], v[2:3]
	v_fmac_f64_e32 v[14:15], v[14:15], v[16:17]
	v_fmac_f64_e32 v[12:13], v[18:19], v[14:15]
	v_fma_f64 v[16:17], -v[12:13], v[12:13], v[2:3]
	v_fmac_f64_e32 v[12:13], v[16:17], v[14:15]
	v_mov_b32_e32 v14, 0xffffff80
	v_cndmask_b32_e32 v14, 0, v14, vcc
	v_ldexp_f64 v[12:13], v[12:13], v14
	v_mov_b32_e32 v14, 0x260
	v_cmp_class_f64_e32 vcc, v[2:3], v14
	v_cndmask_b32_e32 v3, v13, v3, vcc
	v_cndmask_b32_e32 v2, v12, v2, vcc
	v_div_scale_f64 v[12:13], s[10:11], v[2:3], v[2:3], v[10:11]
	v_rcp_f64_e32 v[14:15], v[12:13]
	v_fma_f64 v[16:17], -v[12:13], v[14:15], 1.0
	v_fmac_f64_e32 v[14:15], v[14:15], v[16:17]
	v_fma_f64 v[16:17], -v[12:13], v[14:15], 1.0
	v_fmac_f64_e32 v[14:15], v[14:15], v[16:17]
	v_div_scale_f64 v[16:17], vcc, v[10:11], v[2:3], v[10:11]
	v_mul_f64 v[18:19], v[16:17], v[14:15]
	v_fma_f64 v[12:13], -v[12:13], v[18:19], v[16:17]
	s_nop 1
	v_div_fmas_f64 v[12:13], v[12:13], v[14:15], v[18:19]
	v_div_fixup_f64 v[10:11], v[12:13], v[2:3], v[10:11]
.LBB5_15:
	s_or_b64 exec, exec, s[6:7]
	s_mov_b32 s6, 0
	s_mov_b32 s7, 0x40200000
	v_cmp_le_f64_e64 s[6:7], |v[4:5]|, s[6:7]
	s_and_saveexec_b64 s[10:11], s[6:7]
	s_xor_b64 s[6:7], exec, s[10:11]
	s_cbranch_execz .LBB5_17
; %bb.16:
	s_mov_b32 s10, 0x2134d0ef
	v_fma_f64 v[2:3], |v[4:5]|, 0.5, -2.0
	v_mov_b32_e32 v12, 0x977da589
	v_mov_b32_e32 v13, 0x3c833362
	s_mov_b32 s11, 0xbc545cb7
	v_fmac_f64_e32 v[12:13], s[10:11], v[2:3]
	v_mov_b32_e32 v14, 0x2134d0ef
	v_mov_b32_e32 v15, 0x3c545cb7
	s_mov_b32 s10, 0x721ebbb4
	v_fmac_f64_e32 v[14:15], v[2:3], v[12:13]
	s_mov_b32 s11, 0xbcb184eb
	v_add_f64 v[14:15], v[14:15], s[10:11]
	s_mov_b32 s10, 0x93f65eba
	v_fma_f64 v[12:13], v[2:3], v[14:15], -v[12:13]
	s_mov_b32 s11, 0x3cdee6d8
	v_add_f64 v[12:13], v[12:13], s[10:11]
	s_mov_b32 s10, 0xc297fbeb
	v_fma_f64 v[14:15], v[2:3], v[12:13], -v[14:15]
	s_mov_b32 s11, 0xbd0a5022
	v_add_f64 v[14:15], v[14:15], s[10:11]
	s_mov_b32 s10, 0x4b262627
	v_fma_f64 v[12:13], v[2:3], v[14:15], -v[12:13]
	s_mov_b32 s11, 0x3d359b46
	v_add_f64 v[12:13], v[12:13], s[10:11]
	s_mov_b32 s10, 0x62ee1af0
	v_fma_f64 v[14:15], v[2:3], v[12:13], -v[14:15]
	s_mov_b32 s11, 0xbd61164c
	v_add_f64 v[14:15], v[14:15], s[10:11]
	s_mov_b32 s10, 0xe19bd324
	v_fma_f64 v[12:13], v[2:3], v[14:15], -v[12:13]
	s_mov_b32 s11, 0x3d89fe2f
	v_add_f64 v[12:13], v[12:13], s[10:11]
	s_mov_b32 s10, 0x7a946abc
	v_fma_f64 v[14:15], v[2:3], v[12:13], -v[14:15]
	s_mov_b32 s11, 0xbdb2fc95
	v_add_f64 v[14:15], v[14:15], s[10:11]
	s_mov_b32 s10, 0xcc743c10
	v_fma_f64 v[12:13], v[2:3], v[14:15], -v[12:13]
	s_mov_b32 s11, 0x3dda98be
	v_add_f64 v[12:13], v[12:13], s[10:11]
	s_mov_b32 s10, 0x13ae9556
	v_fma_f64 v[14:15], v[2:3], v[12:13], -v[14:15]
	s_mov_b32 s11, 0xbe01d4fe
	v_add_f64 v[14:15], v[14:15], s[10:11]
	s_mov_b32 s10, 0xa454cb34
	v_fma_f64 v[12:13], v[2:3], v[14:15], -v[12:13]
	s_mov_b32 s11, 0x3e26d903
	v_add_f64 v[12:13], v[12:13], s[10:11]
	s_mov_b32 s10, 0x8c0b30ab
	v_fma_f64 v[14:15], v[2:3], v[12:13], -v[14:15]
	s_mov_b32 s11, 0xbe4beaf6
	v_add_f64 v[14:15], v[14:15], s[10:11]
	s_mov_b32 s10, 0x9d4d6435
	v_fma_f64 v[12:13], v[2:3], v[14:15], -v[12:13]
	s_mov_b32 s11, 0x3e703b76
	v_add_f64 v[12:13], v[12:13], s[10:11]
	s_mov_b32 s10, 0x8f227f8d
	v_fma_f64 v[14:15], v[2:3], v[12:13], -v[14:15]
	s_mov_b32 s11, 0xbe91ec63
	v_add_f64 v[14:15], v[14:15], s[10:11]
	s_mov_b32 s10, 0x978cf4ac
	v_fma_f64 v[12:13], v[2:3], v[14:15], -v[12:13]
	s_mov_b32 s11, 0x3eb2bf24
	v_add_f64 v[12:13], v[12:13], s[10:11]
	s_mov_b32 s10, 0xcba56427
	v_fma_f64 v[14:15], v[2:3], v[12:13], -v[14:15]
	s_mov_b32 s11, 0xbed2866f
	v_add_f64 v[14:15], v[14:15], s[10:11]
	s_mov_b32 s10, 0xbe9a2859
	v_fma_f64 v[12:13], v[2:3], v[14:15], -v[12:13]
	s_mov_b32 s11, 0x3ef13f58
	v_add_f64 v[12:13], v[12:13], s[10:11]
	s_mov_b32 s10, 0x59c41d5a
	v_fma_f64 v[14:15], v[2:3], v[12:13], -v[14:15]
	s_mov_b32 s11, 0xbf0e2b26
	v_add_f64 v[14:15], v[14:15], s[10:11]
	s_mov_b32 s10, 0x74107cab
	v_fma_f64 v[12:13], v[2:3], v[14:15], -v[12:13]
	s_mov_b32 s11, 0x3f28b51b
	v_add_f64 v[12:13], v[12:13], s[10:11]
	s_mov_b32 s10, 0x1f15eb52
	v_fma_f64 v[14:15], v[2:3], v[12:13], -v[14:15]
	s_mov_b32 s11, 0xbf42e2fd
	v_add_f64 v[14:15], v[14:15], s[10:11]
	s_mov_b32 s10, 0x8a12100e
	v_fma_f64 v[12:13], v[2:3], v[14:15], -v[12:13]
	s_mov_b32 s11, 0x3f5adc75
	v_add_f64 v[12:13], v[12:13], s[10:11]
	s_mov_b32 s10, 0x201aa849
	v_fma_f64 v[14:15], v[2:3], v[12:13], -v[14:15]
	s_mov_b32 s11, 0xbf71b65e
	v_add_f64 v[14:15], v[14:15], s[10:11]
	s_mov_b32 s10, 0xf3dde3dd
	v_fma_f64 v[12:13], v[2:3], v[14:15], -v[12:13]
	s_mov_b32 s11, 0x3f859961
	v_add_f64 v[12:13], v[12:13], s[10:11]
	s_mov_b32 s10, 0xf121b6f0
	v_fma_f64 v[14:15], v[2:3], v[12:13], -v[14:15]
	s_mov_b32 s11, 0xbf984e9e
	v_add_f64 v[14:15], v[14:15], s[10:11]
	s_mov_b32 s10, 0xcea8a32d
	v_fma_f64 v[12:13], v[2:3], v[14:15], -v[12:13]
	s_mov_b32 s11, 0x3fa93e8a
	v_add_f64 v[12:13], v[12:13], s[10:11]
	s_mov_b32 s10, 0x342d06ea
	v_fma_f64 v[14:15], v[2:3], v[12:13], -v[14:15]
	s_mov_b32 s11, 0xbfb84b70
	v_add_f64 v[14:15], v[14:15], s[10:11]
	s_mov_b32 s10, 0x77ac88c0
	v_fma_f64 v[12:13], v[2:3], v[14:15], -v[12:13]
	s_mov_b32 s11, 0x3fc5f7ac
	v_add_f64 v[12:13], v[12:13], s[10:11]
	s_mov_b32 s10, 0xc057cd8d
	v_fma_f64 v[14:15], v[2:3], v[12:13], -v[14:15]
	s_mov_b32 s11, 0xbfd37feb
	v_add_f64 v[14:15], v[14:15], s[10:11]
	s_mov_b32 s10, 0x9035a22a
	v_fma_f64 v[2:3], v[2:3], v[14:15], -v[12:13]
	s_mov_b32 s11, 0x3fe5a84e
	v_add_f64 v[2:3], v[2:3], s[10:11]
	s_mov_b32 s10, 0x652b82fe
	s_mov_b32 s11, 0x3ff71547
	v_mul_f64 v[14:15], |v[4:5]|, s[10:11]
	s_mov_b32 s10, 0xfefa39ef
	v_rndne_f64_e32 v[14:15], v[14:15]
	s_mov_b32 s11, 0xbfe62e42
	v_fma_f64 v[16:17], v[14:15], s[10:11], |v[4:5]|
	s_mov_b32 s10, 0x3b39803f
	s_mov_b32 s11, 0xbc7abc9e
	v_fmac_f64_e32 v[16:17], s[10:11], v[14:15]
	s_mov_b32 s10, 0x6a5dcb37
	v_mov_b32_e32 v18, 0xfca7ab0c
	v_mov_b32_e32 v19, 0x3e928af3
	s_mov_b32 s11, 0x3e5ade15
	v_fmac_f64_e32 v[18:19], s[10:11], v[16:17]
	v_mov_b32_e32 v20, 0x623fde64
	v_mov_b32_e32 v21, 0x3ec71dee
	v_fmac_f64_e32 v[20:21], v[16:17], v[18:19]
	v_mov_b32_e32 v18, 0x7c89e6b0
	v_mov_b32_e32 v19, 0x3efa0199
	;; [unrolled: 3-line block ×8, first 2 shown]
	v_fmac_f64_e32 v[18:19], v[16:17], v[20:21]
	v_fma_f64 v[18:19], v[16:17], v[18:19], 1.0
	s_mov_b32 s10, 0
	v_fma_f64 v[16:17], v[16:17], v[18:19], 1.0
	v_cvt_i32_f64_e32 v14, v[14:15]
	s_mov_b32 s11, 0x40900000
	v_ldexp_f64 v[14:15], v[16:17], v14
	v_mov_b32_e32 v16, 0x7ff00000
	v_cmp_ngt_f64_e64 vcc, |v[4:5]|, s[10:11]
	v_add_f64 v[2:3], v[2:3], -v[12:13]
	v_cndmask_b32_e32 v5, v16, v15, vcc
	v_cndmask_b32_e32 v4, 0, v14, vcc
	v_mul_f64 v[2:3], v[2:3], 0.5
	v_mul_f64 v[12:13], v[4:5], v[2:3]
                                        ; implicit-def: $vgpr4_vgpr5
.LBB5_17:
	s_andn2_saveexec_b64 s[6:7], s[6:7]
	s_cbranch_execz .LBB5_19
; %bb.18:
	s_mov_b32 s10, 0
	v_and_b32_e32 v3, 0x7fffffff, v5
	v_mov_b32_e32 v2, v4
	s_mov_b32 s11, 0x40400000
	v_div_scale_f64 v[12:13], s[12:13], v[2:3], v[2:3], s[10:11]
	v_rcp_f64_e32 v[14:15], v[12:13]
	v_div_scale_f64 v[2:3], vcc, s[10:11], v[2:3], s[10:11]
	v_mov_b32_e32 v18, 0xfca7ab0c
	v_fma_f64 v[16:17], -v[12:13], v[14:15], 1.0
	v_fmac_f64_e32 v[14:15], v[14:15], v[16:17]
	v_fma_f64 v[16:17], -v[12:13], v[14:15], 1.0
	v_fmac_f64_e32 v[14:15], v[14:15], v[16:17]
	v_mul_f64 v[16:17], v[2:3], v[14:15]
	v_fma_f64 v[2:3], -v[12:13], v[16:17], v[2:3]
	v_div_fmas_f64 v[2:3], v[2:3], v[14:15], v[16:17]
	v_div_fixup_f64 v[2:3], v[2:3], |v[4:5]|, s[10:11]
	s_mov_b32 s10, 0x54ca8b19
	v_add_f64 v[2:3], v[2:3], -2.0
	v_mov_b32_e32 v12, 0x66119130
	v_mov_b32_e32 v13, 0xbc5646da
	s_mov_b32 s11, 0xbc60adb7
	v_fmac_f64_e32 v[12:13], s[10:11], v[2:3]
	v_mov_b32_e32 v14, 0x54ca8b19
	v_mov_b32_e32 v15, 0x3c60adb7
	s_mov_b32 s10, 0x12d98421
	v_fmac_f64_e32 v[14:15], v[2:3], v[12:13]
	s_mov_b32 s11, 0x3c89be18
	v_add_f64 v[14:15], v[14:15], s[10:11]
	s_mov_b32 s10, 0x76041cd
	v_fma_f64 v[12:13], v[2:3], v[14:15], -v[12:13]
	s_mov_b32 s11, 0x3c83f3dd
	v_add_f64 v[12:13], v[12:13], s[10:11]
	s_mov_b32 s10, 0xabd21fe4
	v_fma_f64 v[14:15], v[2:3], v[12:13], -v[14:15]
	;; [unrolled: 4-line block ×22, first 2 shown]
	s_mov_b32 s11, 0x3fe9be62
	v_add_f64 v[2:3], v[2:3], s[10:11]
	s_mov_b32 s10, 0x652b82fe
	s_mov_b32 s11, 0x3ff71547
	v_mul_f64 v[12:13], |v[4:5]|, s[10:11]
	s_mov_b32 s10, 0xfefa39ef
	v_rndne_f64_e32 v[12:13], v[12:13]
	s_mov_b32 s11, 0xbfe62e42
	v_fma_f64 v[16:17], v[12:13], s[10:11], |v[4:5]|
	s_mov_b32 s10, 0x3b39803f
	s_mov_b32 s11, 0xbc7abc9e
	v_fmac_f64_e32 v[16:17], s[10:11], v[12:13]
	s_mov_b32 s10, 0x6a5dcb37
	v_mov_b32_e32 v19, 0x3e928af3
	s_mov_b32 s11, 0x3e5ade15
	v_fmac_f64_e32 v[18:19], s[10:11], v[16:17]
	v_mov_b32_e32 v20, 0x623fde64
	v_mov_b32_e32 v21, 0x3ec71dee
	v_fmac_f64_e32 v[20:21], v[16:17], v[18:19]
	v_mov_b32_e32 v18, 0x7c89e6b0
	v_mov_b32_e32 v19, 0x3efa0199
	;; [unrolled: 3-line block ×8, first 2 shown]
	v_fmac_f64_e32 v[18:19], v[16:17], v[20:21]
	s_mov_b32 s10, 0
	v_fma_f64 v[18:19], v[16:17], v[18:19], 1.0
	s_mov_b32 s11, 0x40900000
	v_fma_f64 v[16:17], v[16:17], v[18:19], 1.0
	v_cvt_i32_f64_e32 v12, v[12:13]
	v_cmp_ngt_f64_e64 vcc, |v[4:5]|, s[10:11]
	s_mov_b32 s10, 0
	v_ldexp_f64 v[12:13], v[16:17], v12
	v_mov_b32_e32 v16, 0x7ff00000
	s_brev_b32 s11, 8
	v_cndmask_b32_e32 v13, v16, v13, vcc
	v_cndmask_b32_e32 v12, 0, v12, vcc
	v_cmp_lt_f64_e64 vcc, |v[4:5]|, s[10:11]
	v_cndmask_b32_e64 v16, 0, 1, vcc
	v_lshlrev_b32_e32 v16, 8, v16
	v_ldexp_f64 v[4:5], |v[4:5]|, v16
	v_rsq_f64_e32 v[16:17], v[4:5]
	v_add_f64 v[2:3], v[2:3], -v[14:15]
	v_mul_f64 v[2:3], v[2:3], 0.5
	v_mul_f64 v[2:3], v[12:13], v[2:3]
	v_mul_f64 v[12:13], v[4:5], v[16:17]
	v_mul_f64 v[14:15], v[16:17], 0.5
	v_fma_f64 v[16:17], -v[14:15], v[12:13], 0.5
	v_fmac_f64_e32 v[12:13], v[12:13], v[16:17]
	v_fma_f64 v[18:19], -v[12:13], v[12:13], v[4:5]
	v_fmac_f64_e32 v[14:15], v[14:15], v[16:17]
	v_fmac_f64_e32 v[12:13], v[18:19], v[14:15]
	v_fma_f64 v[16:17], -v[12:13], v[12:13], v[4:5]
	v_fmac_f64_e32 v[12:13], v[16:17], v[14:15]
	v_mov_b32_e32 v14, 0xffffff80
	v_cndmask_b32_e32 v14, 0, v14, vcc
	v_ldexp_f64 v[12:13], v[12:13], v14
	v_mov_b32_e32 v14, 0x260
	v_cmp_class_f64_e32 vcc, v[4:5], v14
	v_cndmask_b32_e32 v5, v13, v5, vcc
	v_cndmask_b32_e32 v4, v12, v4, vcc
	v_div_scale_f64 v[12:13], s[10:11], v[4:5], v[4:5], v[2:3]
	v_rcp_f64_e32 v[14:15], v[12:13]
	v_fma_f64 v[16:17], -v[12:13], v[14:15], 1.0
	v_fmac_f64_e32 v[14:15], v[14:15], v[16:17]
	v_fma_f64 v[16:17], -v[12:13], v[14:15], 1.0
	v_fmac_f64_e32 v[14:15], v[14:15], v[16:17]
	v_div_scale_f64 v[16:17], vcc, v[2:3], v[4:5], v[2:3]
	v_mul_f64 v[18:19], v[16:17], v[14:15]
	v_fma_f64 v[12:13], -v[12:13], v[18:19], v[16:17]
	s_nop 1
	v_div_fmas_f64 v[12:13], v[12:13], v[14:15], v[18:19]
	v_div_fixup_f64 v[12:13], v[12:13], v[4:5], v[2:3]
.LBB5_19:
	s_or_b64 exec, exec, s[6:7]
	s_add_u32 s4, s16, s4
	s_addc_u32 s5, s17, s5
	v_mov_b32_e32 v2, s5
	v_add_co_u32_e32 v3, vcc, s4, v1
	v_addc_co_u32_e32 v4, vcc, 0, v2, vcc
	v_add_co_u32_e32 v2, vcc, 0x1000, v3
	v_addc_co_u32_e32 v3, vcc, 0, v4, vcc
	global_store_dwordx4 v1, v[6:9], s[4:5]
	global_store_dwordx4 v[2:3], v[10:13], off
	s_branch .LBB5_2
.LBB5_20:
	s_mov_b32 s12, s8
	v_mov_b32_e32 v31, v0
	v_mov_b32_e32 v0, s16
	;; [unrolled: 1-line block ×6, first 2 shown]
	s_getpc_b64 s[4:5]
	s_add_u32 s4, s4, _ZN2at6native25elementwise_kernel_helperILb0EZZZNS0_12_GLOBAL__N_130modified_bessel_i0_kernel_cudaERNS_18TensorIteratorBaseEENKUlvE_clEvENKUlvE_clEvEUldE_NS0_6memory8policies11unroll_baseILi256ESt5arrayIPcLm2EE23TrivialOffsetCalculatorILi1EjESF_NS8_15LoadWithoutCastENS8_16StoreWithoutCastELi4ELi1EEEEEvT0_T1_@rel32@lo+4
	s_addc_u32 s5, s5, _ZN2at6native25elementwise_kernel_helperILb0EZZZNS0_12_GLOBAL__N_130modified_bessel_i0_kernel_cudaERNS_18TensorIteratorBaseEENKUlvE_clEvENKUlvE_clEvEUldE_NS0_6memory8policies11unroll_baseILi256ESt5arrayIPcLm2EE23TrivialOffsetCalculatorILi1EjESF_NS8_15LoadWithoutCastENS8_16StoreWithoutCastELi4ELi1EEEEEvT0_T1_@rel32@hi+12
	s_swappc_b64 s[30:31], s[4:5]
	s_endpgm
	.section	.rodata,"a",@progbits
	.p2align	6, 0x0
	.amdhsa_kernel _ZN2at6native29vectorized_elementwise_kernelILi2EZZZNS0_12_GLOBAL__N_130modified_bessel_i0_kernel_cudaERNS_18TensorIteratorBaseEENKUlvE_clEvENKUlvE_clEvEUldE_St5arrayIPcLm2EEEEviT0_T1_
		.amdhsa_group_segment_fixed_size 0
		.amdhsa_private_segment_fixed_size 0
		.amdhsa_kernarg_size 24
		.amdhsa_user_sgpr_count 8
		.amdhsa_user_sgpr_private_segment_buffer 1
		.amdhsa_user_sgpr_dispatch_ptr 0
		.amdhsa_user_sgpr_queue_ptr 0
		.amdhsa_user_sgpr_kernarg_segment_ptr 1
		.amdhsa_user_sgpr_dispatch_id 0
		.amdhsa_user_sgpr_flat_scratch_init 1
		.amdhsa_user_sgpr_kernarg_preload_length 0
		.amdhsa_user_sgpr_kernarg_preload_offset 0
		.amdhsa_user_sgpr_private_segment_size 0
		.amdhsa_uses_dynamic_stack 0
		.amdhsa_system_sgpr_private_segment_wavefront_offset 0
		.amdhsa_system_sgpr_workgroup_id_x 1
		.amdhsa_system_sgpr_workgroup_id_y 0
		.amdhsa_system_sgpr_workgroup_id_z 0
		.amdhsa_system_sgpr_workgroup_info 0
		.amdhsa_system_vgpr_workitem_id 0
		.amdhsa_next_free_vgpr 32
		.amdhsa_next_free_sgpr 33
		.amdhsa_accum_offset 32
		.amdhsa_reserve_vcc 1
		.amdhsa_reserve_flat_scratch 1
		.amdhsa_float_round_mode_32 0
		.amdhsa_float_round_mode_16_64 0
		.amdhsa_float_denorm_mode_32 3
		.amdhsa_float_denorm_mode_16_64 3
		.amdhsa_dx10_clamp 1
		.amdhsa_ieee_mode 1
		.amdhsa_fp16_overflow 0
		.amdhsa_tg_split 0
		.amdhsa_exception_fp_ieee_invalid_op 0
		.amdhsa_exception_fp_denorm_src 0
		.amdhsa_exception_fp_ieee_div_zero 0
		.amdhsa_exception_fp_ieee_overflow 0
		.amdhsa_exception_fp_ieee_underflow 0
		.amdhsa_exception_fp_ieee_inexact 0
		.amdhsa_exception_int_div_zero 0
	.end_amdhsa_kernel
	.section	.text._ZN2at6native29vectorized_elementwise_kernelILi2EZZZNS0_12_GLOBAL__N_130modified_bessel_i0_kernel_cudaERNS_18TensorIteratorBaseEENKUlvE_clEvENKUlvE_clEvEUldE_St5arrayIPcLm2EEEEviT0_T1_,"axG",@progbits,_ZN2at6native29vectorized_elementwise_kernelILi2EZZZNS0_12_GLOBAL__N_130modified_bessel_i0_kernel_cudaERNS_18TensorIteratorBaseEENKUlvE_clEvENKUlvE_clEvEUldE_St5arrayIPcLm2EEEEviT0_T1_,comdat
.Lfunc_end5:
	.size	_ZN2at6native29vectorized_elementwise_kernelILi2EZZZNS0_12_GLOBAL__N_130modified_bessel_i0_kernel_cudaERNS_18TensorIteratorBaseEENKUlvE_clEvENKUlvE_clEvEUldE_St5arrayIPcLm2EEEEviT0_T1_, .Lfunc_end5-_ZN2at6native29vectorized_elementwise_kernelILi2EZZZNS0_12_GLOBAL__N_130modified_bessel_i0_kernel_cudaERNS_18TensorIteratorBaseEENKUlvE_clEvENKUlvE_clEvEUldE_St5arrayIPcLm2EEEEviT0_T1_
                                        ; -- End function
	.section	.AMDGPU.csdata,"",@progbits
; Kernel info:
; codeLenInByte = 11480
; NumSgprs: 39
; NumVgprs: 32
; NumAgprs: 0
; TotalNumVgprs: 32
; ScratchSize: 0
; MemoryBound: 0
; FloatMode: 240
; IeeeMode: 1
; LDSByteSize: 0 bytes/workgroup (compile time only)
; SGPRBlocks: 4
; VGPRBlocks: 3
; NumSGPRsForWavesPerEU: 39
; NumVGPRsForWavesPerEU: 32
; AccumOffset: 32
; Occupancy: 8
; WaveLimiterHint : 1
; COMPUTE_PGM_RSRC2:SCRATCH_EN: 0
; COMPUTE_PGM_RSRC2:USER_SGPR: 8
; COMPUTE_PGM_RSRC2:TRAP_HANDLER: 0
; COMPUTE_PGM_RSRC2:TGID_X_EN: 1
; COMPUTE_PGM_RSRC2:TGID_Y_EN: 0
; COMPUTE_PGM_RSRC2:TGID_Z_EN: 0
; COMPUTE_PGM_RSRC2:TIDIG_COMP_CNT: 0
; COMPUTE_PGM_RSRC3_GFX90A:ACCUM_OFFSET: 7
; COMPUTE_PGM_RSRC3_GFX90A:TG_SPLIT: 0
	.section	.text._ZN2at6native27unrolled_elementwise_kernelIZZZNS0_12_GLOBAL__N_130modified_bessel_i0_kernel_cudaERNS_18TensorIteratorBaseEENKUlvE_clEvENKUlvE_clEvEUldE_St5arrayIPcLm2EELi4E23TrivialOffsetCalculatorILi1EjESC_NS0_6memory15LoadWithoutCastENSD_16StoreWithoutCastEEEviT_T0_T2_T3_T4_T5_,"axG",@progbits,_ZN2at6native27unrolled_elementwise_kernelIZZZNS0_12_GLOBAL__N_130modified_bessel_i0_kernel_cudaERNS_18TensorIteratorBaseEENKUlvE_clEvENKUlvE_clEvEUldE_St5arrayIPcLm2EELi4E23TrivialOffsetCalculatorILi1EjESC_NS0_6memory15LoadWithoutCastENSD_16StoreWithoutCastEEEviT_T0_T2_T3_T4_T5_,comdat
	.globl	_ZN2at6native27unrolled_elementwise_kernelIZZZNS0_12_GLOBAL__N_130modified_bessel_i0_kernel_cudaERNS_18TensorIteratorBaseEENKUlvE_clEvENKUlvE_clEvEUldE_St5arrayIPcLm2EELi4E23TrivialOffsetCalculatorILi1EjESC_NS0_6memory15LoadWithoutCastENSD_16StoreWithoutCastEEEviT_T0_T2_T3_T4_T5_ ; -- Begin function _ZN2at6native27unrolled_elementwise_kernelIZZZNS0_12_GLOBAL__N_130modified_bessel_i0_kernel_cudaERNS_18TensorIteratorBaseEENKUlvE_clEvENKUlvE_clEvEUldE_St5arrayIPcLm2EELi4E23TrivialOffsetCalculatorILi1EjESC_NS0_6memory15LoadWithoutCastENSD_16StoreWithoutCastEEEviT_T0_T2_T3_T4_T5_
	.p2align	8
	.type	_ZN2at6native27unrolled_elementwise_kernelIZZZNS0_12_GLOBAL__N_130modified_bessel_i0_kernel_cudaERNS_18TensorIteratorBaseEENKUlvE_clEvENKUlvE_clEvEUldE_St5arrayIPcLm2EELi4E23TrivialOffsetCalculatorILi1EjESC_NS0_6memory15LoadWithoutCastENSD_16StoreWithoutCastEEEviT_T0_T2_T3_T4_T5_,@function
_ZN2at6native27unrolled_elementwise_kernelIZZZNS0_12_GLOBAL__N_130modified_bessel_i0_kernel_cudaERNS_18TensorIteratorBaseEENKUlvE_clEvENKUlvE_clEvEUldE_St5arrayIPcLm2EELi4E23TrivialOffsetCalculatorILi1EjESC_NS0_6memory15LoadWithoutCastENSD_16StoreWithoutCastEEEviT_T0_T2_T3_T4_T5_: ; @_ZN2at6native27unrolled_elementwise_kernelIZZZNS0_12_GLOBAL__N_130modified_bessel_i0_kernel_cudaERNS_18TensorIteratorBaseEENKUlvE_clEvENKUlvE_clEvEUldE_St5arrayIPcLm2EELi4E23TrivialOffsetCalculatorILi1EjESC_NS0_6memory15LoadWithoutCastENSD_16StoreWithoutCastEEEviT_T0_T2_T3_T4_T5_
; %bb.0:
	s_add_u32 flat_scratch_lo, s6, s9
	s_load_dword s6, s[4:5], 0x0
	s_load_dwordx4 s[16:19], s[4:5], 0x8
	s_addc_u32 flat_scratch_hi, s7, 0
	s_add_u32 s0, s0, s9
	s_addc_u32 s1, s1, 0
	s_lshl_b32 s4, s8, 10
	s_waitcnt lgkmcnt(0)
	s_sub_i32 s6, s6, s4
	s_mov_b32 s12, s8
	v_mov_b32_e32 v31, v0
	v_mov_b32_e32 v0, s16
	;; [unrolled: 1-line block ×6, first 2 shown]
	s_mov_b32 s32, 0
	s_getpc_b64 s[4:5]
	s_add_u32 s4, s4, _ZN2at6native25elementwise_kernel_helperILb0EZZZNS0_12_GLOBAL__N_130modified_bessel_i0_kernel_cudaERNS_18TensorIteratorBaseEENKUlvE_clEvENKUlvE_clEvEUldE_NS0_6memory8policies11unroll_baseILi256ESt5arrayIPcLm2EE23TrivialOffsetCalculatorILi1EjESF_NS8_15LoadWithoutCastENS8_16StoreWithoutCastELi4ELi1EEEEEvT0_T1_@rel32@lo+4
	s_addc_u32 s5, s5, _ZN2at6native25elementwise_kernel_helperILb0EZZZNS0_12_GLOBAL__N_130modified_bessel_i0_kernel_cudaERNS_18TensorIteratorBaseEENKUlvE_clEvENKUlvE_clEvEUldE_NS0_6memory8policies11unroll_baseILi256ESt5arrayIPcLm2EE23TrivialOffsetCalculatorILi1EjESF_NS8_15LoadWithoutCastENS8_16StoreWithoutCastELi4ELi1EEEEEvT0_T1_@rel32@hi+12
	s_swappc_b64 s[30:31], s[4:5]
	s_endpgm
	.section	.rodata,"a",@progbits
	.p2align	6, 0x0
	.amdhsa_kernel _ZN2at6native27unrolled_elementwise_kernelIZZZNS0_12_GLOBAL__N_130modified_bessel_i0_kernel_cudaERNS_18TensorIteratorBaseEENKUlvE_clEvENKUlvE_clEvEUldE_St5arrayIPcLm2EELi4E23TrivialOffsetCalculatorILi1EjESC_NS0_6memory15LoadWithoutCastENSD_16StoreWithoutCastEEEviT_T0_T2_T3_T4_T5_
		.amdhsa_group_segment_fixed_size 0
		.amdhsa_private_segment_fixed_size 0
		.amdhsa_kernarg_size 28
		.amdhsa_user_sgpr_count 8
		.amdhsa_user_sgpr_private_segment_buffer 1
		.amdhsa_user_sgpr_dispatch_ptr 0
		.amdhsa_user_sgpr_queue_ptr 0
		.amdhsa_user_sgpr_kernarg_segment_ptr 1
		.amdhsa_user_sgpr_dispatch_id 0
		.amdhsa_user_sgpr_flat_scratch_init 1
		.amdhsa_user_sgpr_kernarg_preload_length 0
		.amdhsa_user_sgpr_kernarg_preload_offset 0
		.amdhsa_user_sgpr_private_segment_size 0
		.amdhsa_uses_dynamic_stack 0
		.amdhsa_system_sgpr_private_segment_wavefront_offset 0
		.amdhsa_system_sgpr_workgroup_id_x 1
		.amdhsa_system_sgpr_workgroup_id_y 0
		.amdhsa_system_sgpr_workgroup_id_z 0
		.amdhsa_system_sgpr_workgroup_info 0
		.amdhsa_system_vgpr_workitem_id 0
		.amdhsa_next_free_vgpr 32
		.amdhsa_next_free_sgpr 33
		.amdhsa_accum_offset 32
		.amdhsa_reserve_vcc 1
		.amdhsa_reserve_flat_scratch 1
		.amdhsa_float_round_mode_32 0
		.amdhsa_float_round_mode_16_64 0
		.amdhsa_float_denorm_mode_32 3
		.amdhsa_float_denorm_mode_16_64 3
		.amdhsa_dx10_clamp 1
		.amdhsa_ieee_mode 1
		.amdhsa_fp16_overflow 0
		.amdhsa_tg_split 0
		.amdhsa_exception_fp_ieee_invalid_op 0
		.amdhsa_exception_fp_denorm_src 0
		.amdhsa_exception_fp_ieee_div_zero 0
		.amdhsa_exception_fp_ieee_overflow 0
		.amdhsa_exception_fp_ieee_underflow 0
		.amdhsa_exception_fp_ieee_inexact 0
		.amdhsa_exception_int_div_zero 0
	.end_amdhsa_kernel
	.section	.text._ZN2at6native27unrolled_elementwise_kernelIZZZNS0_12_GLOBAL__N_130modified_bessel_i0_kernel_cudaERNS_18TensorIteratorBaseEENKUlvE_clEvENKUlvE_clEvEUldE_St5arrayIPcLm2EELi4E23TrivialOffsetCalculatorILi1EjESC_NS0_6memory15LoadWithoutCastENSD_16StoreWithoutCastEEEviT_T0_T2_T3_T4_T5_,"axG",@progbits,_ZN2at6native27unrolled_elementwise_kernelIZZZNS0_12_GLOBAL__N_130modified_bessel_i0_kernel_cudaERNS_18TensorIteratorBaseEENKUlvE_clEvENKUlvE_clEvEUldE_St5arrayIPcLm2EELi4E23TrivialOffsetCalculatorILi1EjESC_NS0_6memory15LoadWithoutCastENSD_16StoreWithoutCastEEEviT_T0_T2_T3_T4_T5_,comdat
.Lfunc_end6:
	.size	_ZN2at6native27unrolled_elementwise_kernelIZZZNS0_12_GLOBAL__N_130modified_bessel_i0_kernel_cudaERNS_18TensorIteratorBaseEENKUlvE_clEvENKUlvE_clEvEUldE_St5arrayIPcLm2EELi4E23TrivialOffsetCalculatorILi1EjESC_NS0_6memory15LoadWithoutCastENSD_16StoreWithoutCastEEEviT_T0_T2_T3_T4_T5_, .Lfunc_end6-_ZN2at6native27unrolled_elementwise_kernelIZZZNS0_12_GLOBAL__N_130modified_bessel_i0_kernel_cudaERNS_18TensorIteratorBaseEENKUlvE_clEvENKUlvE_clEvEUldE_St5arrayIPcLm2EELi4E23TrivialOffsetCalculatorILi1EjESC_NS0_6memory15LoadWithoutCastENSD_16StoreWithoutCastEEEviT_T0_T2_T3_T4_T5_
                                        ; -- End function
	.section	.AMDGPU.csdata,"",@progbits
; Kernel info:
; codeLenInByte = 104
; NumSgprs: 39
; NumVgprs: 32
; NumAgprs: 0
; TotalNumVgprs: 32
; ScratchSize: 0
; MemoryBound: 0
; FloatMode: 240
; IeeeMode: 1
; LDSByteSize: 0 bytes/workgroup (compile time only)
; SGPRBlocks: 4
; VGPRBlocks: 3
; NumSGPRsForWavesPerEU: 39
; NumVGPRsForWavesPerEU: 32
; AccumOffset: 32
; Occupancy: 8
; WaveLimiterHint : 0
; COMPUTE_PGM_RSRC2:SCRATCH_EN: 0
; COMPUTE_PGM_RSRC2:USER_SGPR: 8
; COMPUTE_PGM_RSRC2:TRAP_HANDLER: 0
; COMPUTE_PGM_RSRC2:TGID_X_EN: 1
; COMPUTE_PGM_RSRC2:TGID_Y_EN: 0
; COMPUTE_PGM_RSRC2:TGID_Z_EN: 0
; COMPUTE_PGM_RSRC2:TIDIG_COMP_CNT: 0
; COMPUTE_PGM_RSRC3_GFX90A:ACCUM_OFFSET: 7
; COMPUTE_PGM_RSRC3_GFX90A:TG_SPLIT: 0
	.section	.text._ZN2at6native32elementwise_kernel_manual_unrollILi128ELi4EZNS0_22gpu_kernel_impl_nocastIZZZNS0_12_GLOBAL__N_130modified_bessel_i0_kernel_cudaERNS_18TensorIteratorBaseEENKUlvE_clEvENKUlvE_clEvEUldE_EEvS5_RKT_EUlibE_EEviT1_,"axG",@progbits,_ZN2at6native32elementwise_kernel_manual_unrollILi128ELi4EZNS0_22gpu_kernel_impl_nocastIZZZNS0_12_GLOBAL__N_130modified_bessel_i0_kernel_cudaERNS_18TensorIteratorBaseEENKUlvE_clEvENKUlvE_clEvEUldE_EEvS5_RKT_EUlibE_EEviT1_,comdat
	.globl	_ZN2at6native32elementwise_kernel_manual_unrollILi128ELi4EZNS0_22gpu_kernel_impl_nocastIZZZNS0_12_GLOBAL__N_130modified_bessel_i0_kernel_cudaERNS_18TensorIteratorBaseEENKUlvE_clEvENKUlvE_clEvEUldE_EEvS5_RKT_EUlibE_EEviT1_ ; -- Begin function _ZN2at6native32elementwise_kernel_manual_unrollILi128ELi4EZNS0_22gpu_kernel_impl_nocastIZZZNS0_12_GLOBAL__N_130modified_bessel_i0_kernel_cudaERNS_18TensorIteratorBaseEENKUlvE_clEvENKUlvE_clEvEUldE_EEvS5_RKT_EUlibE_EEviT1_
	.p2align	8
	.type	_ZN2at6native32elementwise_kernel_manual_unrollILi128ELi4EZNS0_22gpu_kernel_impl_nocastIZZZNS0_12_GLOBAL__N_130modified_bessel_i0_kernel_cudaERNS_18TensorIteratorBaseEENKUlvE_clEvENKUlvE_clEvEUldE_EEvS5_RKT_EUlibE_EEviT1_,@function
_ZN2at6native32elementwise_kernel_manual_unrollILi128ELi4EZNS0_22gpu_kernel_impl_nocastIZZZNS0_12_GLOBAL__N_130modified_bessel_i0_kernel_cudaERNS_18TensorIteratorBaseEENKUlvE_clEvENKUlvE_clEvEUldE_EEvS5_RKT_EUlibE_EEviT1_: ; @_ZN2at6native32elementwise_kernel_manual_unrollILi128ELi4EZNS0_22gpu_kernel_impl_nocastIZZZNS0_12_GLOBAL__N_130modified_bessel_i0_kernel_cudaERNS_18TensorIteratorBaseEENKUlvE_clEvENKUlvE_clEvEUldE_EEvS5_RKT_EUlibE_EEviT1_
; %bb.0:
	s_load_dword s57, s[4:5], 0x0
	s_load_dword s33, s[4:5], 0x8
	s_or_b32 s4, s4, 8
	v_lshl_or_b32 v6, s6, 9, v0
	v_or_b32_e32 v9, 0x180, v6
	s_waitcnt lgkmcnt(0)
	v_cmp_le_i32_e32 vcc, s57, v9
	s_add_i32 s56, s33, -1
	s_cmp_gt_u32 s56, 1
	s_cselect_b64 s[6:7], -1, 0
	s_and_saveexec_b64 s[0:1], vcc
	s_xor_b64 s[34:35], exec, s[0:1]
	s_cbranch_execz .LBB7_8
; %bb.1:
	s_load_dwordx4 s[28:31], s[4:5], 0x4
	s_load_dwordx2 s[40:41], s[4:5], 0x14
	s_load_dwordx4 s[24:27], s[4:5], 0xc4
	s_load_dwordx4 s[0:3], s[4:5], 0x148
	s_cmp_lg_u32 s33, 0
	s_cselect_b64 s[46:47], -1, 0
	s_add_u32 s44, s4, 0xc4
	s_addc_u32 s45, s5, 0
	s_min_u32 s58, s56, 15
	s_cmp_gt_u32 s33, 1
	s_cselect_b64 s[42:43], -1, 0
	v_cmp_gt_i32_e32 vcc, s57, v6
	s_and_saveexec_b64 s[48:49], vcc
	s_cbranch_execz .LBB7_16
; %bb.2:
	s_andn2_b64 vcc, exec, s[6:7]
	s_cbranch_vccnz .LBB7_24
; %bb.3:
	s_mov_b32 s50, 0
	s_andn2_b64 vcc, exec, s[46:47]
	v_mov_b32_e32 v2, 0
	v_mov_b32_e32 v0, 0
	s_cbranch_vccnz .LBB7_96
; %bb.4:
	s_add_i32 s59, s58, 1
	s_cmp_eq_u32 s56, 2
	s_cbranch_scc1 .LBB7_91
; %bb.5:
	s_and_b32 s50, s59, 28
	s_mov_b32 s51, 0
	v_mov_b32_e32 v0, 0
	s_mov_b64 s[52:53], s[4:5]
	s_mov_b64 s[54:55], s[44:45]
	v_mov_b32_e32 v3, v6
	v_mov_b32_e32 v2, 0
.LBB7_6:                                ; =>This Inner Loop Header: Depth=1
	s_load_dwordx8 s[16:23], s[52:53], 0x4
	s_load_dwordx4 s[36:39], s[52:53], 0x24
	s_load_dwordx8 s[8:15], s[54:55], 0x0
	s_add_u32 s52, s52, 48
	s_addc_u32 s53, s53, 0
	s_waitcnt lgkmcnt(0)
	v_mul_hi_u32 v1, s17, v3
	v_add_u32_e32 v1, v3, v1
	v_lshrrev_b32_e32 v1, s18, v1
	v_mul_lo_u32 v4, v1, s16
	v_mul_hi_u32 v5, s20, v1
	v_sub_u32_e32 v3, v3, v4
	v_add_u32_e32 v4, v1, v5
	v_lshrrev_b32_e32 v4, s21, v4
	v_mul_lo_u32 v7, v4, s19
	v_mul_hi_u32 v8, s23, v4
	v_sub_u32_e32 v1, v1, v7
	v_add_u32_e32 v7, v4, v8
	v_mul_lo_u32 v5, v3, s9
	v_mul_lo_u32 v3, v3, s8
	;; [unrolled: 1-line block ×4, first 2 shown]
	v_lshrrev_b32_e32 v7, s36, v7
	v_add3_u32 v0, v3, v0, v1
	v_mul_hi_u32 v3, s38, v7
	v_add_u32_e32 v3, v7, v3
	v_lshrrev_b32_e32 v3, s39, v3
	s_add_i32 s51, s51, 4
	v_add3_u32 v1, v5, v2, v8
	v_mul_lo_u32 v2, v7, s22
	v_mul_lo_u32 v5, v3, s37
	s_add_u32 s54, s54, 32
	v_sub_u32_e32 v2, v4, v2
	v_sub_u32_e32 v5, v7, v5
	s_addc_u32 s55, s55, 0
	v_mul_lo_u32 v4, v2, s12
	v_mul_lo_u32 v2, v2, s13
	;; [unrolled: 1-line block ×4, first 2 shown]
	s_cmp_lg_u32 s50, s51
	v_add3_u32 v2, v2, v1, v5
	v_add3_u32 v0, v4, v0, v7
	s_cbranch_scc1 .LBB7_6
; %bb.7:
	v_mov_b32_e32 v1, v2
	s_branch .LBB7_92
.LBB7_8:
	s_andn2_saveexec_b64 s[0:1], s[34:35]
	s_cbranch_execz .LBB7_127
.LBB7_9:
	v_cndmask_b32_e64 v0, 0, 1, s[6:7]
	v_cmp_ne_u32_e64 s[0:1], 1, v0
	s_andn2_b64 vcc, exec, s[6:7]
	s_cbranch_vccnz .LBB7_23
; %bb.10:
	s_mov_b32 s2, 0
	s_cmp_lg_u32 s33, 0
	v_mov_b32_e32 v10, 0
	v_mov_b32_e32 v0, 0
	s_cbranch_scc0 .LBB7_15
; %bb.11:
	s_min_u32 s30, s56, 15
	s_add_i32 s30, s30, 1
	s_cmp_eq_u32 s56, 2
	s_cbranch_scc1 .LBB7_26
; %bb.12:
	s_add_u32 s6, s4, 0xc4
	s_addc_u32 s7, s5, 0
	s_and_b32 s2, s30, 28
	s_mov_b32 s3, 0
	v_mov_b32_e32 v0, 0
	s_mov_b64 s[28:29], s[4:5]
	v_mov_b32_e32 v2, v6
	v_mov_b32_e32 v10, 0
.LBB7_13:                               ; =>This Inner Loop Header: Depth=1
	s_load_dwordx8 s[16:23], s[28:29], 0x4
	s_load_dwordx4 s[24:27], s[28:29], 0x24
	s_load_dwordx8 s[8:15], s[6:7], 0x0
	s_add_u32 s28, s28, 48
	s_addc_u32 s29, s29, 0
	s_waitcnt lgkmcnt(0)
	v_mul_hi_u32 v1, s17, v2
	v_add_u32_e32 v1, v2, v1
	v_lshrrev_b32_e32 v1, s18, v1
	v_mul_lo_u32 v3, v1, s16
	v_mul_hi_u32 v4, s20, v1
	v_sub_u32_e32 v2, v2, v3
	v_add_u32_e32 v3, v1, v4
	v_lshrrev_b32_e32 v3, s21, v3
	v_mul_lo_u32 v5, v3, s19
	v_mul_hi_u32 v7, s23, v3
	v_sub_u32_e32 v1, v1, v5
	v_add_u32_e32 v5, v3, v7
	v_mul_lo_u32 v4, v2, s9
	v_mul_lo_u32 v2, v2, s8
	v_mul_lo_u32 v7, v1, s11
	v_mul_lo_u32 v1, v1, s10
	v_lshrrev_b32_e32 v5, s24, v5
	v_add3_u32 v0, v2, v0, v1
	v_add3_u32 v1, v4, v10, v7
	v_mul_lo_u32 v2, v5, s22
	v_mul_hi_u32 v4, s26, v5
	v_sub_u32_e32 v2, v3, v2
	v_add_u32_e32 v3, v5, v4
	v_mul_lo_u32 v4, v2, s12
	v_mul_lo_u32 v7, v2, s13
	v_lshrrev_b32_e32 v2, s27, v3
	s_add_i32 s3, s3, 4
	v_mul_lo_u32 v3, v2, s25
	s_add_u32 s6, s6, 32
	v_sub_u32_e32 v3, v5, v3
	s_addc_u32 s7, s7, 0
	v_mul_lo_u32 v5, v3, s14
	v_mul_lo_u32 v3, v3, s15
	s_cmp_lg_u32 s2, s3
	v_add3_u32 v10, v7, v1, v3
	v_add3_u32 v0, v4, v0, v5
	s_cbranch_scc1 .LBB7_13
; %bb.14:
	v_mov_b32_e32 v1, v10
	s_and_b32 s8, s30, 3
	s_cmp_eq_u32 s8, 0
	s_cbranch_scc0 .LBB7_27
.LBB7_15:
	s_cbranch_execz .LBB7_30
	s_branch .LBB7_32
.LBB7_16:
	s_or_b64 exec, exec, s[48:49]
	v_cmp_gt_i32_e32 vcc, s57, v6
	s_and_saveexec_b64 s[48:49], vcc
	s_cbranch_execz .LBB7_104
.LBB7_17:
	s_andn2_b64 vcc, exec, s[6:7]
	s_cbranch_vccnz .LBB7_25
; %bb.18:
	s_mov_b32 s50, 0
	s_andn2_b64 vcc, exec, s[46:47]
	v_mov_b32_e32 v2, 0
	v_mov_b32_e32 v0, 0
	s_cbranch_vccnz .LBB7_117
; %bb.19:
	s_add_i32 s59, s58, 1
	s_cmp_eq_u32 s56, 2
	s_cbranch_scc1 .LBB7_112
; %bb.20:
	s_and_b32 s50, s59, 28
	s_mov_b32 s51, 0
	v_mov_b32_e32 v0, 0
	s_mov_b64 s[52:53], s[4:5]
	s_mov_b64 s[54:55], s[44:45]
	v_mov_b32_e32 v3, v6
	v_mov_b32_e32 v2, 0
.LBB7_21:                               ; =>This Inner Loop Header: Depth=1
	s_load_dwordx8 s[16:23], s[52:53], 0x4
	s_load_dwordx4 s[36:39], s[52:53], 0x24
	s_load_dwordx8 s[8:15], s[54:55], 0x0
	s_add_u32 s52, s52, 48
	s_addc_u32 s53, s53, 0
	s_waitcnt lgkmcnt(0)
	v_mul_hi_u32 v1, s17, v3
	v_add_u32_e32 v1, v3, v1
	v_lshrrev_b32_e32 v1, s18, v1
	v_mul_lo_u32 v4, v1, s16
	v_mul_hi_u32 v5, s20, v1
	v_sub_u32_e32 v3, v3, v4
	v_add_u32_e32 v4, v1, v5
	v_lshrrev_b32_e32 v4, s21, v4
	v_mul_lo_u32 v7, v4, s19
	v_mul_hi_u32 v8, s23, v4
	v_sub_u32_e32 v1, v1, v7
	v_add_u32_e32 v7, v4, v8
	v_mul_lo_u32 v5, v3, s9
	v_mul_lo_u32 v3, v3, s8
	;; [unrolled: 1-line block ×4, first 2 shown]
	v_lshrrev_b32_e32 v7, s36, v7
	v_add3_u32 v0, v3, v0, v1
	v_mul_hi_u32 v3, s38, v7
	v_add_u32_e32 v3, v7, v3
	v_lshrrev_b32_e32 v3, s39, v3
	s_add_i32 s51, s51, 4
	v_add3_u32 v1, v5, v2, v8
	v_mul_lo_u32 v2, v7, s22
	v_mul_lo_u32 v5, v3, s37
	s_add_u32 s54, s54, 32
	v_sub_u32_e32 v2, v4, v2
	v_sub_u32_e32 v5, v7, v5
	s_addc_u32 s55, s55, 0
	v_mul_lo_u32 v4, v2, s12
	v_mul_lo_u32 v2, v2, s13
	;; [unrolled: 1-line block ×4, first 2 shown]
	s_cmp_eq_u32 s50, s51
	v_add3_u32 v2, v2, v1, v5
	v_add3_u32 v0, v4, v0, v7
	s_cbranch_scc0 .LBB7_21
; %bb.22:
	v_mov_b32_e32 v1, v2
	s_branch .LBB7_113
.LBB7_23:
                                        ; implicit-def: $vgpr10
                                        ; implicit-def: $vgpr0
	s_branch .LBB7_30
.LBB7_24:
                                        ; implicit-def: $vgpr2
                                        ; implicit-def: $vgpr0
	s_branch .LBB7_97
.LBB7_25:
                                        ; implicit-def: $vgpr2
                                        ; implicit-def: $vgpr0
	s_branch .LBB7_118
.LBB7_26:
	s_mov_b32 s3, s2
	v_pk_mov_b32 v[0:1], s[2:3], s[2:3] op_sel:[0,1]
                                        ; implicit-def: $vgpr10
	v_mov_b32_e32 v2, v6
	s_and_b32 s8, s30, 3
	s_cmp_eq_u32 s8, 0
	s_cbranch_scc1 .LBB7_15
.LBB7_27:
	s_lshl_b32 s3, s2, 3
	s_add_u32 s3, s3, s4
	s_addc_u32 s7, 0, s5
	s_add_u32 s6, s3, 0xc4
	s_addc_u32 s7, s7, 0
	s_mul_i32 s2, s2, 12
	s_add_u32 s2, s4, s2
	s_addc_u32 s3, 0, s5
.LBB7_28:                               ; =>This Inner Loop Header: Depth=1
	s_load_dwordx2 s[10:11], s[2:3], 0x4
	s_load_dword s9, s[2:3], 0xc
	s_load_dwordx2 s[12:13], s[6:7], 0x0
	v_mov_b32_e32 v4, v1
	s_add_u32 s2, s2, 12
	s_waitcnt lgkmcnt(0)
	v_mul_hi_u32 v1, s11, v2
	v_add_u32_e32 v1, v2, v1
	v_lshrrev_b32_e32 v1, s9, v1
	s_addc_u32 s3, s3, 0
	v_mul_lo_u32 v3, v1, s10
	s_add_u32 s6, s6, 8
	v_sub_u32_e32 v3, v2, v3
	s_addc_u32 s7, s7, 0
	s_add_i32 s8, s8, -1
	v_mov_b32_e32 v2, v1
	v_mad_u64_u32 v[4:5], s[10:11], v3, s13, v[4:5]
	v_mad_u64_u32 v[0:1], s[10:11], v3, s12, v[0:1]
	s_cmp_lg_u32 s8, 0
	v_mov_b32_e32 v1, v4
	s_cbranch_scc1 .LBB7_28
; %bb.29:
	v_mov_b32_e32 v10, v1
	s_cbranch_execnz .LBB7_32
.LBB7_30:
	s_load_dwordx4 s[8:11], s[4:5], 0x4
	s_load_dwordx2 s[2:3], s[4:5], 0xc4
	s_cmp_lt_u32 s33, 2
	s_waitcnt lgkmcnt(0)
	v_mul_hi_u32 v0, s9, v6
	v_add_u32_e32 v0, v6, v0
	v_lshrrev_b32_e32 v1, s10, v0
	v_mul_lo_u32 v0, v1, s8
	v_sub_u32_e32 v0, v6, v0
	v_mul_lo_u32 v10, v0, s3
	v_mul_lo_u32 v0, v0, s2
	s_cbranch_scc1 .LBB7_32
; %bb.31:
	s_load_dwordx4 s[8:11], s[4:5], 0x10
	s_load_dwordx2 s[2:3], s[4:5], 0xcc
	s_waitcnt lgkmcnt(0)
	v_mul_hi_u32 v2, s9, v1
	v_add_u32_e32 v2, v1, v2
	v_lshrrev_b32_e32 v2, s10, v2
	v_mul_lo_u32 v2, v2, s8
	v_sub_u32_e32 v2, v1, v2
	v_mad_u64_u32 v[0:1], s[6:7], v2, s2, v[0:1]
	v_mad_u64_u32 v[10:11], s[2:3], v2, s3, v[10:11]
.LBB7_32:
	s_and_b64 vcc, exec, s[0:1]
	v_add_u32_e32 v1, 0x80, v6
	s_cbranch_vccnz .LBB7_39
; %bb.33:
	s_mov_b32 s2, 0
	s_cmp_lg_u32 s33, 0
	v_mov_b32_e32 v14, 0
	v_mov_b32_e32 v2, 0
	s_cbranch_scc0 .LBB7_38
; %bb.34:
	s_min_u32 s30, s56, 15
	s_add_i32 s30, s30, 1
	s_cmp_eq_u32 s56, 2
	s_cbranch_scc1 .LBB7_40
; %bb.35:
	s_add_u32 s6, s4, 0xc4
	s_addc_u32 s7, s5, 0
	s_and_b32 s2, s30, 28
	s_mov_b32 s3, 0
	v_mov_b32_e32 v2, 0
	s_mov_b64 s[28:29], s[4:5]
	v_mov_b32_e32 v4, v1
	v_mov_b32_e32 v14, 0
.LBB7_36:                               ; =>This Inner Loop Header: Depth=1
	s_load_dwordx8 s[16:23], s[28:29], 0x4
	s_load_dwordx4 s[24:27], s[28:29], 0x24
	s_load_dwordx8 s[8:15], s[6:7], 0x0
	s_add_u32 s28, s28, 48
	s_addc_u32 s29, s29, 0
	s_waitcnt lgkmcnt(0)
	v_mul_hi_u32 v3, s17, v4
	v_add_u32_e32 v3, v4, v3
	v_lshrrev_b32_e32 v3, s18, v3
	v_mul_lo_u32 v5, v3, s16
	v_mul_hi_u32 v7, s20, v3
	v_sub_u32_e32 v4, v4, v5
	v_add_u32_e32 v5, v3, v7
	v_lshrrev_b32_e32 v5, s21, v5
	v_mul_lo_u32 v8, v5, s19
	v_mul_hi_u32 v11, s23, v5
	v_sub_u32_e32 v3, v3, v8
	v_add_u32_e32 v8, v5, v11
	v_mul_lo_u32 v7, v4, s9
	v_mul_lo_u32 v4, v4, s8
	;; [unrolled: 1-line block ×4, first 2 shown]
	v_lshrrev_b32_e32 v8, s24, v8
	v_add3_u32 v2, v4, v2, v3
	v_add3_u32 v3, v7, v14, v11
	v_mul_lo_u32 v4, v8, s22
	v_mul_hi_u32 v7, s26, v8
	v_sub_u32_e32 v4, v5, v4
	v_add_u32_e32 v5, v8, v7
	v_mul_lo_u32 v7, v4, s12
	v_mul_lo_u32 v11, v4, s13
	v_lshrrev_b32_e32 v4, s27, v5
	s_add_i32 s3, s3, 4
	v_mul_lo_u32 v5, v4, s25
	s_add_u32 s6, s6, 32
	v_sub_u32_e32 v5, v8, v5
	s_addc_u32 s7, s7, 0
	v_mul_lo_u32 v8, v5, s14
	v_mul_lo_u32 v5, v5, s15
	s_cmp_lg_u32 s2, s3
	v_add3_u32 v14, v11, v3, v5
	v_add3_u32 v2, v7, v2, v8
	s_cbranch_scc1 .LBB7_36
; %bb.37:
	v_mov_b32_e32 v3, v14
	s_and_b32 s8, s30, 3
	s_cmp_eq_u32 s8, 0
	s_cbranch_scc0 .LBB7_41
.LBB7_38:
	s_cbranch_execz .LBB7_44
	s_branch .LBB7_46
.LBB7_39:
                                        ; implicit-def: $vgpr14
                                        ; implicit-def: $vgpr2
	s_branch .LBB7_44
.LBB7_40:
	s_mov_b32 s3, s2
	v_pk_mov_b32 v[2:3], s[2:3], s[2:3] op_sel:[0,1]
                                        ; implicit-def: $vgpr14
	v_mov_b32_e32 v4, v1
	s_and_b32 s8, s30, 3
	s_cmp_eq_u32 s8, 0
	s_cbranch_scc1 .LBB7_38
.LBB7_41:
	s_lshl_b32 s3, s2, 3
	s_add_u32 s3, s3, s4
	s_addc_u32 s7, 0, s5
	s_add_u32 s6, s3, 0xc4
	s_addc_u32 s7, s7, 0
	s_mul_i32 s2, s2, 12
	s_add_u32 s2, s4, s2
	s_addc_u32 s3, 0, s5
.LBB7_42:                               ; =>This Inner Loop Header: Depth=1
	s_load_dwordx2 s[10:11], s[2:3], 0x4
	s_load_dword s9, s[2:3], 0xc
	s_load_dwordx2 s[12:13], s[6:7], 0x0
	v_mov_b32_e32 v8, v3
	s_add_u32 s2, s2, 12
	s_waitcnt lgkmcnt(0)
	v_mul_hi_u32 v3, s11, v4
	v_add_u32_e32 v3, v4, v3
	v_lshrrev_b32_e32 v3, s9, v3
	s_addc_u32 s3, s3, 0
	v_mul_lo_u32 v5, v3, s10
	s_add_u32 s6, s6, 8
	v_sub_u32_e32 v5, v4, v5
	s_addc_u32 s7, s7, 0
	s_add_i32 s8, s8, -1
	v_mov_b32_e32 v4, v3
	v_mad_u64_u32 v[12:13], s[10:11], v5, s13, v[8:9]
	v_mad_u64_u32 v[2:3], s[10:11], v5, s12, v[2:3]
	s_cmp_lg_u32 s8, 0
	v_mov_b32_e32 v3, v12
	s_cbranch_scc1 .LBB7_42
; %bb.43:
	v_mov_b32_e32 v14, v3
	s_cbranch_execnz .LBB7_46
.LBB7_44:
	s_load_dwordx4 s[8:11], s[4:5], 0x4
	s_load_dwordx2 s[2:3], s[4:5], 0xc4
	s_cmp_lt_u32 s33, 2
	s_waitcnt lgkmcnt(0)
	v_mul_hi_u32 v2, s9, v1
	v_add_u32_e32 v2, v1, v2
	v_lshrrev_b32_e32 v3, s10, v2
	v_mul_lo_u32 v2, v3, s8
	v_sub_u32_e32 v1, v1, v2
	v_mul_lo_u32 v14, v1, s3
	v_mul_lo_u32 v2, v1, s2
	s_cbranch_scc1 .LBB7_46
; %bb.45:
	s_load_dwordx4 s[8:11], s[4:5], 0x10
	s_load_dwordx2 s[2:3], s[4:5], 0xcc
	s_waitcnt lgkmcnt(0)
	v_mul_hi_u32 v1, s9, v3
	v_add_u32_e32 v1, v3, v1
	v_lshrrev_b32_e32 v1, s10, v1
	v_mul_lo_u32 v1, v1, s8
	v_sub_u32_e32 v1, v3, v1
	v_mad_u64_u32 v[2:3], s[6:7], v1, s2, v[2:3]
	v_mad_u64_u32 v[14:15], s[2:3], v1, s3, v[14:15]
.LBB7_46:
	s_and_b64 vcc, exec, s[0:1]
	v_add_u32_e32 v1, 0x100, v6
	s_cbranch_vccnz .LBB7_53
; %bb.47:
	s_mov_b32 s2, 0
	s_cmp_lg_u32 s33, 0
	v_mov_b32_e32 v12, 0
	v_mov_b32_e32 v4, 0
	s_cbranch_scc0 .LBB7_52
; %bb.48:
	s_min_u32 s30, s56, 15
	s_add_i32 s30, s30, 1
	s_cmp_eq_u32 s56, 2
	s_cbranch_scc1 .LBB7_54
; %bb.49:
	s_add_u32 s6, s4, 0xc4
	s_addc_u32 s7, s5, 0
	s_and_b32 s2, s30, 28
	s_mov_b32 s3, 0
	v_mov_b32_e32 v4, 0
	s_mov_b64 s[28:29], s[4:5]
	v_mov_b32_e32 v3, v1
	v_mov_b32_e32 v12, 0
.LBB7_50:                               ; =>This Inner Loop Header: Depth=1
	s_load_dwordx8 s[16:23], s[28:29], 0x4
	s_load_dwordx4 s[24:27], s[28:29], 0x24
	s_load_dwordx8 s[8:15], s[6:7], 0x0
	s_add_u32 s28, s28, 48
	s_addc_u32 s29, s29, 0
	s_waitcnt lgkmcnt(0)
	v_mul_hi_u32 v5, s17, v3
	v_add_u32_e32 v5, v3, v5
	v_lshrrev_b32_e32 v5, s18, v5
	v_mul_lo_u32 v6, v5, s16
	v_mul_hi_u32 v7, s20, v5
	v_sub_u32_e32 v3, v3, v6
	v_add_u32_e32 v6, v5, v7
	v_lshrrev_b32_e32 v6, s21, v6
	v_mul_lo_u32 v8, v6, s19
	v_mul_hi_u32 v11, s23, v6
	v_sub_u32_e32 v5, v5, v8
	v_add_u32_e32 v8, v6, v11
	v_mul_lo_u32 v7, v3, s9
	v_mul_lo_u32 v3, v3, s8
	v_mul_lo_u32 v11, v5, s11
	v_mul_lo_u32 v5, v5, s10
	v_lshrrev_b32_e32 v8, s24, v8
	v_add3_u32 v4, v3, v4, v5
	v_add3_u32 v5, v7, v12, v11
	v_mul_lo_u32 v3, v8, s22
	v_mul_hi_u32 v7, s26, v8
	v_sub_u32_e32 v3, v6, v3
	v_add_u32_e32 v6, v8, v7
	v_mul_lo_u32 v7, v3, s12
	v_mul_lo_u32 v11, v3, s13
	v_lshrrev_b32_e32 v3, s27, v6
	s_add_i32 s3, s3, 4
	v_mul_lo_u32 v6, v3, s25
	s_add_u32 s6, s6, 32
	v_sub_u32_e32 v6, v8, v6
	s_addc_u32 s7, s7, 0
	v_mul_lo_u32 v8, v6, s14
	v_mul_lo_u32 v6, v6, s15
	s_cmp_lg_u32 s2, s3
	v_add3_u32 v12, v11, v5, v6
	v_add3_u32 v4, v7, v4, v8
	s_cbranch_scc1 .LBB7_50
; %bb.51:
	v_mov_b32_e32 v5, v12
	s_and_b32 s8, s30, 3
	s_cmp_eq_u32 s8, 0
	s_cbranch_scc0 .LBB7_55
.LBB7_52:
	s_cbranch_execz .LBB7_58
	s_branch .LBB7_60
.LBB7_53:
                                        ; implicit-def: $vgpr12
                                        ; implicit-def: $vgpr4
	s_branch .LBB7_58
.LBB7_54:
	s_mov_b32 s3, s2
	v_pk_mov_b32 v[4:5], s[2:3], s[2:3] op_sel:[0,1]
                                        ; implicit-def: $vgpr12
	v_mov_b32_e32 v3, v1
	s_and_b32 s8, s30, 3
	s_cmp_eq_u32 s8, 0
	s_cbranch_scc1 .LBB7_52
.LBB7_55:
	s_lshl_b32 s3, s2, 3
	s_add_u32 s3, s3, s4
	s_addc_u32 s7, 0, s5
	s_add_u32 s6, s3, 0xc4
	s_addc_u32 s7, s7, 0
	s_mul_i32 s2, s2, 12
	s_add_u32 s2, s4, s2
	s_addc_u32 s3, 0, s5
.LBB7_56:                               ; =>This Inner Loop Header: Depth=1
	s_load_dwordx2 s[10:11], s[2:3], 0x4
	s_load_dword s9, s[2:3], 0xc
	s_load_dwordx2 s[12:13], s[6:7], 0x0
	v_mov_b32_e32 v6, v5
	s_add_u32 s2, s2, 12
	s_waitcnt lgkmcnt(0)
	v_mul_hi_u32 v5, s11, v3
	v_add_u32_e32 v5, v3, v5
	v_lshrrev_b32_e32 v5, s9, v5
	s_addc_u32 s3, s3, 0
	v_mul_lo_u32 v7, v5, s10
	s_add_u32 s6, s6, 8
	v_sub_u32_e32 v8, v3, v7
	s_addc_u32 s7, s7, 0
	s_add_i32 s8, s8, -1
	v_mov_b32_e32 v3, v5
	v_mad_u64_u32 v[6:7], s[10:11], v8, s13, v[6:7]
	v_mad_u64_u32 v[4:5], s[10:11], v8, s12, v[4:5]
	s_cmp_lg_u32 s8, 0
	v_mov_b32_e32 v5, v6
	s_cbranch_scc1 .LBB7_56
; %bb.57:
	v_mov_b32_e32 v12, v5
	s_cbranch_execnz .LBB7_60
.LBB7_58:
	s_load_dwordx4 s[8:11], s[4:5], 0x4
	s_load_dwordx2 s[2:3], s[4:5], 0xc4
	s_cmp_lt_u32 s33, 2
	s_waitcnt lgkmcnt(0)
	v_mul_hi_u32 v3, s9, v1
	v_add_u32_e32 v3, v1, v3
	v_lshrrev_b32_e32 v3, s10, v3
	v_mul_lo_u32 v4, v3, s8
	v_sub_u32_e32 v1, v1, v4
	v_mul_lo_u32 v12, v1, s3
	v_mul_lo_u32 v4, v1, s2
	s_cbranch_scc1 .LBB7_60
; %bb.59:
	s_load_dwordx4 s[8:11], s[4:5], 0x10
	s_load_dwordx2 s[2:3], s[4:5], 0xcc
	s_waitcnt lgkmcnt(0)
	v_mul_hi_u32 v1, s9, v3
	v_add_u32_e32 v1, v3, v1
	v_lshrrev_b32_e32 v1, s10, v1
	v_mul_lo_u32 v1, v1, s8
	v_sub_u32_e32 v1, v3, v1
	v_mad_u64_u32 v[4:5], s[6:7], v1, s2, v[4:5]
	v_mad_u64_u32 v[12:13], s[2:3], v1, s3, v[12:13]
.LBB7_60:
	s_and_b64 vcc, exec, s[0:1]
	s_cbranch_vccnz .LBB7_67
; %bb.61:
	s_mov_b32 s6, 0
	s_cmp_lg_u32 s33, 0
	v_mov_b32_e32 v8, 0
	v_mov_b32_e32 v6, 0
	s_cbranch_scc0 .LBB7_66
; %bb.62:
	s_min_u32 s28, s56, 15
	s_add_i32 s28, s28, 1
	s_cmp_eq_u32 s56, 2
	s_cbranch_scc1 .LBB7_68
; %bb.63:
	s_add_u32 s24, s4, 0xc4
	s_addc_u32 s25, s5, 0
	s_and_b32 s6, s28, 28
	s_mov_b32 s7, 0
	v_mov_b32_e32 v6, 0
	s_mov_b64 s[26:27], s[4:5]
	v_mov_b32_e32 v1, v9
	v_mov_b32_e32 v8, 0
.LBB7_64:                               ; =>This Inner Loop Header: Depth=1
	s_load_dwordx8 s[16:23], s[26:27], 0x4
	s_load_dwordx4 s[0:3], s[26:27], 0x24
	s_load_dwordx8 s[8:15], s[24:25], 0x0
	s_add_u32 s26, s26, 48
	s_addc_u32 s27, s27, 0
	s_waitcnt lgkmcnt(0)
	v_mul_hi_u32 v3, s17, v1
	v_add_u32_e32 v3, v1, v3
	v_lshrrev_b32_e32 v3, s18, v3
	v_mul_lo_u32 v5, v3, s16
	v_mul_hi_u32 v7, s20, v3
	v_sub_u32_e32 v1, v1, v5
	v_add_u32_e32 v5, v3, v7
	v_lshrrev_b32_e32 v5, s21, v5
	v_mul_lo_u32 v11, v5, s19
	v_mul_hi_u32 v13, s23, v5
	v_sub_u32_e32 v3, v3, v11
	v_add_u32_e32 v11, v5, v13
	v_mul_lo_u32 v7, v1, s9
	v_mul_lo_u32 v1, v1, s8
	;; [unrolled: 1-line block ×4, first 2 shown]
	v_lshrrev_b32_e32 v11, s0, v11
	v_add3_u32 v3, v1, v6, v3
	v_add3_u32 v6, v7, v8, v13
	v_mul_lo_u32 v1, v11, s22
	v_mul_hi_u32 v7, s2, v11
	v_sub_u32_e32 v1, v5, v1
	v_add_u32_e32 v5, v11, v7
	v_mul_lo_u32 v7, v1, s12
	v_mul_lo_u32 v8, v1, s13
	v_lshrrev_b32_e32 v1, s3, v5
	s_add_i32 s7, s7, 4
	v_mul_lo_u32 v5, v1, s1
	s_add_u32 s24, s24, 32
	v_sub_u32_e32 v5, v11, v5
	s_addc_u32 s25, s25, 0
	v_mul_lo_u32 v11, v5, s14
	v_mul_lo_u32 v5, v5, s15
	s_cmp_lg_u32 s6, s7
	v_add3_u32 v8, v8, v6, v5
	v_add3_u32 v6, v7, v3, v11
	s_cbranch_scc1 .LBB7_64
; %bb.65:
	v_mov_b32_e32 v7, v8
	s_and_b32 s7, s28, 3
	s_cmp_eq_u32 s7, 0
	s_cbranch_scc0 .LBB7_69
.LBB7_66:
	s_cbranch_execz .LBB7_72
	s_branch .LBB7_74
.LBB7_67:
                                        ; implicit-def: $vgpr8
                                        ; implicit-def: $vgpr6
	s_branch .LBB7_72
.LBB7_68:
	s_mov_b32 s7, s6
	v_pk_mov_b32 v[6:7], s[6:7], s[6:7] op_sel:[0,1]
                                        ; implicit-def: $vgpr8
	v_mov_b32_e32 v1, v9
	s_and_b32 s7, s28, 3
	s_cmp_eq_u32 s7, 0
	s_cbranch_scc1 .LBB7_66
.LBB7_69:
	s_lshl_b32 s0, s6, 3
	s_add_u32 s0, s0, s4
	s_addc_u32 s1, 0, s5
	s_add_u32 s0, s0, 0xc4
	s_addc_u32 s1, s1, 0
	s_mul_i32 s2, s6, 12
	s_add_u32 s2, s4, s2
	s_addc_u32 s3, 0, s5
.LBB7_70:                               ; =>This Inner Loop Header: Depth=1
	s_load_dwordx2 s[8:9], s[2:3], 0x4
	s_load_dword s6, s[2:3], 0xc
	s_load_dwordx2 s[10:11], s[0:1], 0x0
	s_add_u32 s2, s2, 12
	s_addc_u32 s3, s3, 0
	s_waitcnt lgkmcnt(0)
	v_mul_hi_u32 v3, s9, v1
	v_add_u32_e32 v3, v1, v3
	v_lshrrev_b32_e32 v3, s6, v3
	v_mul_lo_u32 v5, v3, s8
	v_mov_b32_e32 v8, v7
	s_add_u32 s0, s0, 8
	v_sub_u32_e32 v5, v1, v5
	s_addc_u32 s1, s1, 0
	s_add_i32 s7, s7, -1
	v_mad_u64_u32 v[16:17], s[8:9], v5, s11, v[8:9]
	v_mad_u64_u32 v[6:7], s[8:9], v5, s10, v[6:7]
	s_cmp_lg_u32 s7, 0
	v_mov_b32_e32 v1, v3
	v_mov_b32_e32 v7, v16
	s_cbranch_scc1 .LBB7_70
; %bb.71:
	v_mov_b32_e32 v8, v7
	s_cbranch_execnz .LBB7_74
.LBB7_72:
	s_load_dwordx4 s[0:3], s[4:5], 0x4
	s_load_dwordx2 s[6:7], s[4:5], 0xc4
	s_cmp_lt_u32 s33, 2
	s_waitcnt lgkmcnt(0)
	v_mul_hi_u32 v1, s1, v9
	v_add_u32_e32 v1, v9, v1
	v_lshrrev_b32_e32 v1, s2, v1
	v_mul_lo_u32 v3, v1, s0
	v_sub_u32_e32 v3, v9, v3
	v_mul_lo_u32 v8, v3, s7
	v_mul_lo_u32 v6, v3, s6
	s_cbranch_scc1 .LBB7_74
; %bb.73:
	s_load_dwordx4 s[0:3], s[4:5], 0x10
	s_load_dwordx2 s[6:7], s[4:5], 0xcc
	s_waitcnt lgkmcnt(0)
	v_mul_hi_u32 v3, s1, v1
	v_add_u32_e32 v3, v1, v3
	v_lshrrev_b32_e32 v3, s2, v3
	v_mul_lo_u32 v3, v3, s0
	v_sub_u32_e32 v1, v1, v3
	v_mad_u64_u32 v[6:7], s[0:1], v1, s6, v[6:7]
	v_mad_u64_u32 v[8:9], s[0:1], v1, s7, v[8:9]
.LBB7_74:
	s_load_dwordx4 s[0:3], s[4:5], 0x148
	s_mov_b32 s4, 0
	s_mov_b32 s5, 0x40200000
	s_waitcnt lgkmcnt(0)
	global_load_dwordx2 v[16:17], v10, s[2:3]
                                        ; implicit-def: $vgpr10_vgpr11
	s_waitcnt vmcnt(0)
	v_cmp_le_f64_e64 s[4:5], |v[16:17]|, s[4:5]
	s_and_saveexec_b64 s[6:7], s[4:5]
	s_xor_b64 s[4:5], exec, s[6:7]
	s_cbranch_execz .LBB7_76
; %bb.75:
	s_mov_b32 s6, 0x2134d0ef
	v_fma_f64 v[10:11], |v[16:17]|, 0.5, -2.0
	v_mov_b32_e32 v18, 0x977da589
	v_mov_b32_e32 v19, 0x3c833362
	s_mov_b32 s7, 0xbc545cb7
	v_fmac_f64_e32 v[18:19], s[6:7], v[10:11]
	v_mov_b32_e32 v20, 0x2134d0ef
	v_mov_b32_e32 v21, 0x3c545cb7
	s_mov_b32 s6, 0x721ebbb4
	v_fmac_f64_e32 v[20:21], v[10:11], v[18:19]
	s_mov_b32 s7, 0xbcb184eb
	v_add_f64 v[20:21], v[20:21], s[6:7]
	s_mov_b32 s6, 0x93f65eba
	v_fma_f64 v[18:19], v[10:11], v[20:21], -v[18:19]
	s_mov_b32 s7, 0x3cdee6d8
	v_add_f64 v[18:19], v[18:19], s[6:7]
	s_mov_b32 s6, 0xc297fbeb
	v_fma_f64 v[20:21], v[10:11], v[18:19], -v[20:21]
	;; [unrolled: 4-line block ×27, first 2 shown]
	s_mov_b32 s7, 0x3fe5a84e
	v_add_f64 v[10:11], v[10:11], s[6:7]
	s_mov_b32 s6, 0x652b82fe
	s_mov_b32 s7, 0x3ff71547
	v_mul_f64 v[20:21], |v[16:17]|, s[6:7]
	s_mov_b32 s6, 0xfefa39ef
	v_rndne_f64_e32 v[20:21], v[20:21]
	s_mov_b32 s7, 0xbfe62e42
	v_fma_f64 v[22:23], v[20:21], s[6:7], |v[16:17]|
	s_mov_b32 s6, 0x3b39803f
	s_mov_b32 s7, 0xbc7abc9e
	v_fmac_f64_e32 v[22:23], s[6:7], v[20:21]
	s_mov_b32 s6, 0x6a5dcb37
	v_mov_b32_e32 v24, 0xfca7ab0c
	v_mov_b32_e32 v25, 0x3e928af3
	s_mov_b32 s7, 0x3e5ade15
	v_fmac_f64_e32 v[24:25], s[6:7], v[22:23]
	v_mov_b32_e32 v26, 0x623fde64
	v_mov_b32_e32 v27, 0x3ec71dee
	v_fmac_f64_e32 v[26:27], v[22:23], v[24:25]
	v_mov_b32_e32 v24, 0x7c89e6b0
	v_mov_b32_e32 v25, 0x3efa0199
	;; [unrolled: 3-line block ×8, first 2 shown]
	v_fmac_f64_e32 v[24:25], v[22:23], v[26:27]
	v_fma_f64 v[24:25], v[22:23], v[24:25], 1.0
	s_mov_b32 s6, 0
	v_fma_f64 v[22:23], v[22:23], v[24:25], 1.0
	v_cvt_i32_f64_e32 v1, v[20:21]
	s_mov_b32 s7, 0x40900000
	v_ldexp_f64 v[20:21], v[22:23], v1
	v_mov_b32_e32 v1, 0x7ff00000
	v_cmp_ngt_f64_e64 vcc, |v[16:17]|, s[6:7]
	v_add_f64 v[10:11], v[10:11], -v[18:19]
	v_cndmask_b32_e32 v17, v1, v21, vcc
	v_cndmask_b32_e32 v16, 0, v20, vcc
	v_mul_f64 v[10:11], v[10:11], 0.5
	v_mul_f64 v[10:11], v[16:17], v[10:11]
                                        ; implicit-def: $vgpr16_vgpr17
.LBB7_76:
	s_andn2_saveexec_b64 s[4:5], s[4:5]
	s_cbranch_execz .LBB7_78
; %bb.77:
	s_mov_b32 s6, 0
	v_and_b32_e32 v11, 0x7fffffff, v17
	v_mov_b32_e32 v10, v16
	s_mov_b32 s7, 0x40400000
	v_div_scale_f64 v[18:19], s[8:9], v[10:11], v[10:11], s[6:7]
	v_rcp_f64_e32 v[20:21], v[18:19]
	v_div_scale_f64 v[10:11], vcc, s[6:7], v[10:11], s[6:7]
	v_mov_b32_e32 v24, 0xfca7ab0c
	v_fma_f64 v[22:23], -v[18:19], v[20:21], 1.0
	v_fmac_f64_e32 v[20:21], v[20:21], v[22:23]
	v_fma_f64 v[22:23], -v[18:19], v[20:21], 1.0
	v_fmac_f64_e32 v[20:21], v[20:21], v[22:23]
	v_mul_f64 v[22:23], v[10:11], v[20:21]
	v_fma_f64 v[10:11], -v[18:19], v[22:23], v[10:11]
	v_div_fmas_f64 v[10:11], v[10:11], v[20:21], v[22:23]
	v_div_fixup_f64 v[10:11], v[10:11], |v[16:17]|, s[6:7]
	s_mov_b32 s6, 0x54ca8b19
	v_add_f64 v[10:11], v[10:11], -2.0
	v_mov_b32_e32 v18, 0x66119130
	v_mov_b32_e32 v19, 0xbc5646da
	s_mov_b32 s7, 0xbc60adb7
	v_fmac_f64_e32 v[18:19], s[6:7], v[10:11]
	v_mov_b32_e32 v20, 0x54ca8b19
	v_mov_b32_e32 v21, 0x3c60adb7
	s_mov_b32 s6, 0x12d98421
	v_fmac_f64_e32 v[20:21], v[10:11], v[18:19]
	s_mov_b32 s7, 0x3c89be18
	v_add_f64 v[20:21], v[20:21], s[6:7]
	s_mov_b32 s6, 0x76041cd
	v_fma_f64 v[18:19], v[10:11], v[20:21], -v[18:19]
	s_mov_b32 s7, 0x3c83f3dd
	v_add_f64 v[18:19], v[18:19], s[6:7]
	s_mov_b32 s6, 0xabd21fe4
	v_fma_f64 v[20:21], v[10:11], v[18:19], -v[20:21]
	;; [unrolled: 4-line block ×22, first 2 shown]
	s_mov_b32 s7, 0x3fe9be62
	v_add_f64 v[10:11], v[10:11], s[6:7]
	s_mov_b32 s6, 0x652b82fe
	s_mov_b32 s7, 0x3ff71547
	v_mul_f64 v[18:19], |v[16:17]|, s[6:7]
	s_mov_b32 s6, 0xfefa39ef
	v_rndne_f64_e32 v[18:19], v[18:19]
	s_mov_b32 s7, 0xbfe62e42
	v_fma_f64 v[22:23], v[18:19], s[6:7], |v[16:17]|
	s_mov_b32 s6, 0x3b39803f
	s_mov_b32 s7, 0xbc7abc9e
	v_fmac_f64_e32 v[22:23], s[6:7], v[18:19]
	s_mov_b32 s6, 0x6a5dcb37
	v_mov_b32_e32 v25, 0x3e928af3
	s_mov_b32 s7, 0x3e5ade15
	v_fmac_f64_e32 v[24:25], s[6:7], v[22:23]
	v_mov_b32_e32 v26, 0x623fde64
	v_mov_b32_e32 v27, 0x3ec71dee
	v_fmac_f64_e32 v[26:27], v[22:23], v[24:25]
	v_mov_b32_e32 v24, 0x7c89e6b0
	v_mov_b32_e32 v25, 0x3efa0199
	;; [unrolled: 3-line block ×8, first 2 shown]
	v_fmac_f64_e32 v[24:25], v[22:23], v[26:27]
	s_mov_b32 s6, 0
	v_fma_f64 v[24:25], v[22:23], v[24:25], 1.0
	s_mov_b32 s7, 0x40900000
	v_fma_f64 v[22:23], v[22:23], v[24:25], 1.0
	v_cvt_i32_f64_e32 v1, v[18:19]
	v_cmp_ngt_f64_e64 vcc, |v[16:17]|, s[6:7]
	s_mov_b32 s6, 0
	v_ldexp_f64 v[18:19], v[22:23], v1
	v_mov_b32_e32 v1, 0x7ff00000
	s_brev_b32 s7, 8
	v_cndmask_b32_e32 v19, v1, v19, vcc
	v_cndmask_b32_e32 v18, 0, v18, vcc
	v_cmp_lt_f64_e64 vcc, |v[16:17]|, s[6:7]
	v_cndmask_b32_e64 v1, 0, 1, vcc
	v_lshlrev_b32_e32 v1, 8, v1
	v_ldexp_f64 v[16:17], |v[16:17]|, v1
	v_rsq_f64_e32 v[22:23], v[16:17]
	v_add_f64 v[10:11], v[10:11], -v[20:21]
	v_mul_f64 v[10:11], v[10:11], 0.5
	v_mul_f64 v[10:11], v[18:19], v[10:11]
	v_mul_f64 v[18:19], v[16:17], v[22:23]
	v_mul_f64 v[20:21], v[22:23], 0.5
	v_fma_f64 v[22:23], -v[20:21], v[18:19], 0.5
	v_fmac_f64_e32 v[18:19], v[18:19], v[22:23]
	v_fma_f64 v[24:25], -v[18:19], v[18:19], v[16:17]
	v_fmac_f64_e32 v[20:21], v[20:21], v[22:23]
	v_fmac_f64_e32 v[18:19], v[24:25], v[20:21]
	v_fma_f64 v[22:23], -v[18:19], v[18:19], v[16:17]
	v_mov_b32_e32 v1, 0xffffff80
	v_fmac_f64_e32 v[18:19], v[22:23], v[20:21]
	v_cndmask_b32_e32 v1, 0, v1, vcc
	v_ldexp_f64 v[18:19], v[18:19], v1
	v_mov_b32_e32 v1, 0x260
	v_cmp_class_f64_e32 vcc, v[16:17], v1
	v_cndmask_b32_e32 v17, v19, v17, vcc
	v_cndmask_b32_e32 v16, v18, v16, vcc
	v_div_scale_f64 v[18:19], s[6:7], v[16:17], v[16:17], v[10:11]
	v_rcp_f64_e32 v[20:21], v[18:19]
	v_fma_f64 v[22:23], -v[18:19], v[20:21], 1.0
	v_fmac_f64_e32 v[20:21], v[20:21], v[22:23]
	v_fma_f64 v[22:23], -v[18:19], v[20:21], 1.0
	v_fmac_f64_e32 v[20:21], v[20:21], v[22:23]
	v_div_scale_f64 v[22:23], vcc, v[10:11], v[16:17], v[10:11]
	v_mul_f64 v[24:25], v[22:23], v[20:21]
	v_fma_f64 v[18:19], -v[18:19], v[24:25], v[22:23]
	s_nop 1
	v_div_fmas_f64 v[18:19], v[18:19], v[20:21], v[24:25]
	v_div_fixup_f64 v[10:11], v[18:19], v[16:17], v[10:11]
.LBB7_78:
	s_or_b64 exec, exec, s[4:5]
	global_load_dwordx2 v[16:17], v14, s[2:3]
	s_mov_b32 s4, 0
	s_mov_b32 s5, 0x40200000
                                        ; implicit-def: $vgpr14_vgpr15
	s_waitcnt vmcnt(0)
	v_cmp_le_f64_e64 s[4:5], |v[16:17]|, s[4:5]
	s_and_saveexec_b64 s[6:7], s[4:5]
	s_xor_b64 s[4:5], exec, s[6:7]
	s_cbranch_execz .LBB7_80
; %bb.79:
	s_mov_b32 s6, 0x2134d0ef
	v_fma_f64 v[14:15], |v[16:17]|, 0.5, -2.0
	v_mov_b32_e32 v18, 0x977da589
	v_mov_b32_e32 v19, 0x3c833362
	s_mov_b32 s7, 0xbc545cb7
	v_fmac_f64_e32 v[18:19], s[6:7], v[14:15]
	v_mov_b32_e32 v20, 0x2134d0ef
	v_mov_b32_e32 v21, 0x3c545cb7
	s_mov_b32 s6, 0x721ebbb4
	v_fmac_f64_e32 v[20:21], v[14:15], v[18:19]
	s_mov_b32 s7, 0xbcb184eb
	v_add_f64 v[20:21], v[20:21], s[6:7]
	s_mov_b32 s6, 0x93f65eba
	v_fma_f64 v[18:19], v[14:15], v[20:21], -v[18:19]
	s_mov_b32 s7, 0x3cdee6d8
	v_add_f64 v[18:19], v[18:19], s[6:7]
	s_mov_b32 s6, 0xc297fbeb
	v_fma_f64 v[20:21], v[14:15], v[18:19], -v[20:21]
	;; [unrolled: 4-line block ×27, first 2 shown]
	s_mov_b32 s7, 0x3fe5a84e
	v_add_f64 v[14:15], v[14:15], s[6:7]
	s_mov_b32 s6, 0x652b82fe
	s_mov_b32 s7, 0x3ff71547
	v_mul_f64 v[20:21], |v[16:17]|, s[6:7]
	s_mov_b32 s6, 0xfefa39ef
	v_rndne_f64_e32 v[20:21], v[20:21]
	s_mov_b32 s7, 0xbfe62e42
	v_fma_f64 v[22:23], v[20:21], s[6:7], |v[16:17]|
	s_mov_b32 s6, 0x3b39803f
	s_mov_b32 s7, 0xbc7abc9e
	v_fmac_f64_e32 v[22:23], s[6:7], v[20:21]
	s_mov_b32 s6, 0x6a5dcb37
	v_mov_b32_e32 v24, 0xfca7ab0c
	v_mov_b32_e32 v25, 0x3e928af3
	s_mov_b32 s7, 0x3e5ade15
	v_fmac_f64_e32 v[24:25], s[6:7], v[22:23]
	v_mov_b32_e32 v26, 0x623fde64
	v_mov_b32_e32 v27, 0x3ec71dee
	v_fmac_f64_e32 v[26:27], v[22:23], v[24:25]
	v_mov_b32_e32 v24, 0x7c89e6b0
	v_mov_b32_e32 v25, 0x3efa0199
	;; [unrolled: 3-line block ×8, first 2 shown]
	v_fmac_f64_e32 v[24:25], v[22:23], v[26:27]
	v_fma_f64 v[24:25], v[22:23], v[24:25], 1.0
	s_mov_b32 s6, 0
	v_fma_f64 v[22:23], v[22:23], v[24:25], 1.0
	v_cvt_i32_f64_e32 v1, v[20:21]
	s_mov_b32 s7, 0x40900000
	v_ldexp_f64 v[20:21], v[22:23], v1
	v_mov_b32_e32 v1, 0x7ff00000
	v_cmp_ngt_f64_e64 vcc, |v[16:17]|, s[6:7]
	v_add_f64 v[14:15], v[14:15], -v[18:19]
	v_cndmask_b32_e32 v17, v1, v21, vcc
	v_cndmask_b32_e32 v16, 0, v20, vcc
	v_mul_f64 v[14:15], v[14:15], 0.5
	v_mul_f64 v[14:15], v[16:17], v[14:15]
                                        ; implicit-def: $vgpr16_vgpr17
.LBB7_80:
	s_andn2_saveexec_b64 s[4:5], s[4:5]
	s_cbranch_execz .LBB7_82
; %bb.81:
	s_mov_b32 s6, 0
	v_and_b32_e32 v15, 0x7fffffff, v17
	v_mov_b32_e32 v14, v16
	s_mov_b32 s7, 0x40400000
	v_div_scale_f64 v[18:19], s[8:9], v[14:15], v[14:15], s[6:7]
	v_rcp_f64_e32 v[20:21], v[18:19]
	v_div_scale_f64 v[14:15], vcc, s[6:7], v[14:15], s[6:7]
	v_mov_b32_e32 v24, 0xfca7ab0c
	v_fma_f64 v[22:23], -v[18:19], v[20:21], 1.0
	v_fmac_f64_e32 v[20:21], v[20:21], v[22:23]
	v_fma_f64 v[22:23], -v[18:19], v[20:21], 1.0
	v_fmac_f64_e32 v[20:21], v[20:21], v[22:23]
	v_mul_f64 v[22:23], v[14:15], v[20:21]
	v_fma_f64 v[14:15], -v[18:19], v[22:23], v[14:15]
	v_div_fmas_f64 v[14:15], v[14:15], v[20:21], v[22:23]
	v_div_fixup_f64 v[14:15], v[14:15], |v[16:17]|, s[6:7]
	s_mov_b32 s6, 0x54ca8b19
	v_add_f64 v[14:15], v[14:15], -2.0
	v_mov_b32_e32 v18, 0x66119130
	v_mov_b32_e32 v19, 0xbc5646da
	s_mov_b32 s7, 0xbc60adb7
	v_fmac_f64_e32 v[18:19], s[6:7], v[14:15]
	v_mov_b32_e32 v20, 0x54ca8b19
	v_mov_b32_e32 v21, 0x3c60adb7
	s_mov_b32 s6, 0x12d98421
	v_fmac_f64_e32 v[20:21], v[14:15], v[18:19]
	s_mov_b32 s7, 0x3c89be18
	v_add_f64 v[20:21], v[20:21], s[6:7]
	s_mov_b32 s6, 0x76041cd
	v_fma_f64 v[18:19], v[14:15], v[20:21], -v[18:19]
	s_mov_b32 s7, 0x3c83f3dd
	v_add_f64 v[18:19], v[18:19], s[6:7]
	s_mov_b32 s6, 0xabd21fe4
	v_fma_f64 v[20:21], v[14:15], v[18:19], -v[20:21]
	;; [unrolled: 4-line block ×22, first 2 shown]
	s_mov_b32 s7, 0x3fe9be62
	v_add_f64 v[14:15], v[14:15], s[6:7]
	s_mov_b32 s6, 0x652b82fe
	s_mov_b32 s7, 0x3ff71547
	v_mul_f64 v[18:19], |v[16:17]|, s[6:7]
	s_mov_b32 s6, 0xfefa39ef
	v_rndne_f64_e32 v[18:19], v[18:19]
	s_mov_b32 s7, 0xbfe62e42
	v_fma_f64 v[22:23], v[18:19], s[6:7], |v[16:17]|
	s_mov_b32 s6, 0x3b39803f
	s_mov_b32 s7, 0xbc7abc9e
	v_fmac_f64_e32 v[22:23], s[6:7], v[18:19]
	s_mov_b32 s6, 0x6a5dcb37
	v_mov_b32_e32 v25, 0x3e928af3
	s_mov_b32 s7, 0x3e5ade15
	v_fmac_f64_e32 v[24:25], s[6:7], v[22:23]
	v_mov_b32_e32 v26, 0x623fde64
	v_mov_b32_e32 v27, 0x3ec71dee
	v_fmac_f64_e32 v[26:27], v[22:23], v[24:25]
	v_mov_b32_e32 v24, 0x7c89e6b0
	v_mov_b32_e32 v25, 0x3efa0199
	;; [unrolled: 3-line block ×8, first 2 shown]
	v_fmac_f64_e32 v[24:25], v[22:23], v[26:27]
	s_mov_b32 s6, 0
	v_fma_f64 v[24:25], v[22:23], v[24:25], 1.0
	s_mov_b32 s7, 0x40900000
	v_fma_f64 v[22:23], v[22:23], v[24:25], 1.0
	v_cvt_i32_f64_e32 v1, v[18:19]
	v_cmp_ngt_f64_e64 vcc, |v[16:17]|, s[6:7]
	s_mov_b32 s6, 0
	v_ldexp_f64 v[18:19], v[22:23], v1
	v_mov_b32_e32 v1, 0x7ff00000
	s_brev_b32 s7, 8
	v_cndmask_b32_e32 v19, v1, v19, vcc
	v_cndmask_b32_e32 v18, 0, v18, vcc
	v_cmp_lt_f64_e64 vcc, |v[16:17]|, s[6:7]
	v_cndmask_b32_e64 v1, 0, 1, vcc
	v_lshlrev_b32_e32 v1, 8, v1
	v_ldexp_f64 v[16:17], |v[16:17]|, v1
	v_rsq_f64_e32 v[22:23], v[16:17]
	v_add_f64 v[14:15], v[14:15], -v[20:21]
	v_mul_f64 v[14:15], v[14:15], 0.5
	v_mul_f64 v[14:15], v[18:19], v[14:15]
	v_mul_f64 v[18:19], v[16:17], v[22:23]
	v_mul_f64 v[20:21], v[22:23], 0.5
	v_fma_f64 v[22:23], -v[20:21], v[18:19], 0.5
	v_fmac_f64_e32 v[18:19], v[18:19], v[22:23]
	v_fma_f64 v[24:25], -v[18:19], v[18:19], v[16:17]
	v_fmac_f64_e32 v[20:21], v[20:21], v[22:23]
	v_fmac_f64_e32 v[18:19], v[24:25], v[20:21]
	v_fma_f64 v[22:23], -v[18:19], v[18:19], v[16:17]
	v_mov_b32_e32 v1, 0xffffff80
	v_fmac_f64_e32 v[18:19], v[22:23], v[20:21]
	v_cndmask_b32_e32 v1, 0, v1, vcc
	v_ldexp_f64 v[18:19], v[18:19], v1
	v_mov_b32_e32 v1, 0x260
	v_cmp_class_f64_e32 vcc, v[16:17], v1
	v_cndmask_b32_e32 v17, v19, v17, vcc
	v_cndmask_b32_e32 v16, v18, v16, vcc
	v_div_scale_f64 v[18:19], s[6:7], v[16:17], v[16:17], v[14:15]
	v_rcp_f64_e32 v[20:21], v[18:19]
	v_fma_f64 v[22:23], -v[18:19], v[20:21], 1.0
	v_fmac_f64_e32 v[20:21], v[20:21], v[22:23]
	v_fma_f64 v[22:23], -v[18:19], v[20:21], 1.0
	v_fmac_f64_e32 v[20:21], v[20:21], v[22:23]
	v_div_scale_f64 v[22:23], vcc, v[14:15], v[16:17], v[14:15]
	v_mul_f64 v[24:25], v[22:23], v[20:21]
	v_fma_f64 v[18:19], -v[18:19], v[24:25], v[22:23]
	s_nop 1
	v_div_fmas_f64 v[18:19], v[18:19], v[20:21], v[24:25]
	v_div_fixup_f64 v[14:15], v[18:19], v[16:17], v[14:15]
.LBB7_82:
	s_or_b64 exec, exec, s[4:5]
	global_load_dwordx2 v[16:17], v12, s[2:3]
	s_mov_b32 s4, 0
	s_mov_b32 s5, 0x40200000
                                        ; implicit-def: $vgpr12_vgpr13
	s_waitcnt vmcnt(0)
	v_cmp_le_f64_e64 s[4:5], |v[16:17]|, s[4:5]
	s_and_saveexec_b64 s[6:7], s[4:5]
	s_xor_b64 s[4:5], exec, s[6:7]
	s_cbranch_execz .LBB7_84
; %bb.83:
	s_mov_b32 s6, 0x2134d0ef
	v_fma_f64 v[12:13], |v[16:17]|, 0.5, -2.0
	v_mov_b32_e32 v18, 0x977da589
	v_mov_b32_e32 v19, 0x3c833362
	s_mov_b32 s7, 0xbc545cb7
	v_fmac_f64_e32 v[18:19], s[6:7], v[12:13]
	v_mov_b32_e32 v20, 0x2134d0ef
	v_mov_b32_e32 v21, 0x3c545cb7
	s_mov_b32 s6, 0x721ebbb4
	v_fmac_f64_e32 v[20:21], v[12:13], v[18:19]
	s_mov_b32 s7, 0xbcb184eb
	v_add_f64 v[20:21], v[20:21], s[6:7]
	s_mov_b32 s6, 0x93f65eba
	v_fma_f64 v[18:19], v[12:13], v[20:21], -v[18:19]
	s_mov_b32 s7, 0x3cdee6d8
	v_add_f64 v[18:19], v[18:19], s[6:7]
	s_mov_b32 s6, 0xc297fbeb
	v_fma_f64 v[20:21], v[12:13], v[18:19], -v[20:21]
	;; [unrolled: 4-line block ×27, first 2 shown]
	s_mov_b32 s7, 0x3fe5a84e
	v_add_f64 v[12:13], v[12:13], s[6:7]
	s_mov_b32 s6, 0x652b82fe
	s_mov_b32 s7, 0x3ff71547
	v_mul_f64 v[20:21], |v[16:17]|, s[6:7]
	s_mov_b32 s6, 0xfefa39ef
	v_rndne_f64_e32 v[20:21], v[20:21]
	s_mov_b32 s7, 0xbfe62e42
	v_fma_f64 v[22:23], v[20:21], s[6:7], |v[16:17]|
	s_mov_b32 s6, 0x3b39803f
	s_mov_b32 s7, 0xbc7abc9e
	v_fmac_f64_e32 v[22:23], s[6:7], v[20:21]
	s_mov_b32 s6, 0x6a5dcb37
	v_mov_b32_e32 v24, 0xfca7ab0c
	v_mov_b32_e32 v25, 0x3e928af3
	s_mov_b32 s7, 0x3e5ade15
	v_fmac_f64_e32 v[24:25], s[6:7], v[22:23]
	v_mov_b32_e32 v26, 0x623fde64
	v_mov_b32_e32 v27, 0x3ec71dee
	v_fmac_f64_e32 v[26:27], v[22:23], v[24:25]
	v_mov_b32_e32 v24, 0x7c89e6b0
	v_mov_b32_e32 v25, 0x3efa0199
	v_fmac_f64_e32 v[24:25], v[22:23], v[26:27]
	v_mov_b32_e32 v26, 0x14761f6e
	v_mov_b32_e32 v27, 0x3f2a01a0
	v_fmac_f64_e32 v[26:27], v[22:23], v[24:25]
	v_mov_b32_e32 v24, 0x1852b7b0
	v_mov_b32_e32 v25, 0x3f56c16c
	v_fmac_f64_e32 v[24:25], v[22:23], v[26:27]
	v_mov_b32_e32 v26, 0x11122322
	v_mov_b32_e32 v27, 0x3f811111
	v_fmac_f64_e32 v[26:27], v[22:23], v[24:25]
	v_mov_b32_e32 v24, 0x555502a1
	v_mov_b32_e32 v25, 0x3fa55555
	v_fmac_f64_e32 v[24:25], v[22:23], v[26:27]
	v_mov_b32_e32 v26, 0x55555511
	v_mov_b32_e32 v27, 0x3fc55555
	v_fmac_f64_e32 v[26:27], v[22:23], v[24:25]
	v_mov_b32_e32 v24, 11
	v_mov_b32_e32 v25, 0x3fe00000
	v_fmac_f64_e32 v[24:25], v[22:23], v[26:27]
	v_fma_f64 v[24:25], v[22:23], v[24:25], 1.0
	s_mov_b32 s6, 0
	v_fma_f64 v[22:23], v[22:23], v[24:25], 1.0
	v_cvt_i32_f64_e32 v1, v[20:21]
	s_mov_b32 s7, 0x40900000
	v_ldexp_f64 v[20:21], v[22:23], v1
	v_mov_b32_e32 v1, 0x7ff00000
	v_cmp_ngt_f64_e64 vcc, |v[16:17]|, s[6:7]
	v_add_f64 v[12:13], v[12:13], -v[18:19]
	v_cndmask_b32_e32 v17, v1, v21, vcc
	v_cndmask_b32_e32 v16, 0, v20, vcc
	v_mul_f64 v[12:13], v[12:13], 0.5
	v_mul_f64 v[12:13], v[16:17], v[12:13]
                                        ; implicit-def: $vgpr16_vgpr17
.LBB7_84:
	s_andn2_saveexec_b64 s[4:5], s[4:5]
	s_cbranch_execz .LBB7_86
; %bb.85:
	s_mov_b32 s6, 0
	v_and_b32_e32 v13, 0x7fffffff, v17
	v_mov_b32_e32 v12, v16
	s_mov_b32 s7, 0x40400000
	v_div_scale_f64 v[18:19], s[8:9], v[12:13], v[12:13], s[6:7]
	v_rcp_f64_e32 v[20:21], v[18:19]
	v_div_scale_f64 v[12:13], vcc, s[6:7], v[12:13], s[6:7]
	v_mov_b32_e32 v24, 0xfca7ab0c
	v_fma_f64 v[22:23], -v[18:19], v[20:21], 1.0
	v_fmac_f64_e32 v[20:21], v[20:21], v[22:23]
	v_fma_f64 v[22:23], -v[18:19], v[20:21], 1.0
	v_fmac_f64_e32 v[20:21], v[20:21], v[22:23]
	v_mul_f64 v[22:23], v[12:13], v[20:21]
	v_fma_f64 v[12:13], -v[18:19], v[22:23], v[12:13]
	v_div_fmas_f64 v[12:13], v[12:13], v[20:21], v[22:23]
	v_div_fixup_f64 v[12:13], v[12:13], |v[16:17]|, s[6:7]
	s_mov_b32 s6, 0x54ca8b19
	v_add_f64 v[12:13], v[12:13], -2.0
	v_mov_b32_e32 v18, 0x66119130
	v_mov_b32_e32 v19, 0xbc5646da
	s_mov_b32 s7, 0xbc60adb7
	v_fmac_f64_e32 v[18:19], s[6:7], v[12:13]
	v_mov_b32_e32 v20, 0x54ca8b19
	v_mov_b32_e32 v21, 0x3c60adb7
	s_mov_b32 s6, 0x12d98421
	v_fmac_f64_e32 v[20:21], v[12:13], v[18:19]
	s_mov_b32 s7, 0x3c89be18
	v_add_f64 v[20:21], v[20:21], s[6:7]
	s_mov_b32 s6, 0x76041cd
	v_fma_f64 v[18:19], v[12:13], v[20:21], -v[18:19]
	s_mov_b32 s7, 0x3c83f3dd
	v_add_f64 v[18:19], v[18:19], s[6:7]
	s_mov_b32 s6, 0xabd21fe4
	v_fma_f64 v[20:21], v[12:13], v[18:19], -v[20:21]
	;; [unrolled: 4-line block ×22, first 2 shown]
	s_mov_b32 s7, 0x3fe9be62
	v_add_f64 v[12:13], v[12:13], s[6:7]
	s_mov_b32 s6, 0x652b82fe
	s_mov_b32 s7, 0x3ff71547
	v_mul_f64 v[18:19], |v[16:17]|, s[6:7]
	s_mov_b32 s6, 0xfefa39ef
	v_rndne_f64_e32 v[18:19], v[18:19]
	s_mov_b32 s7, 0xbfe62e42
	v_fma_f64 v[22:23], v[18:19], s[6:7], |v[16:17]|
	s_mov_b32 s6, 0x3b39803f
	s_mov_b32 s7, 0xbc7abc9e
	v_fmac_f64_e32 v[22:23], s[6:7], v[18:19]
	s_mov_b32 s6, 0x6a5dcb37
	v_mov_b32_e32 v25, 0x3e928af3
	s_mov_b32 s7, 0x3e5ade15
	v_fmac_f64_e32 v[24:25], s[6:7], v[22:23]
	v_mov_b32_e32 v26, 0x623fde64
	v_mov_b32_e32 v27, 0x3ec71dee
	v_fmac_f64_e32 v[26:27], v[22:23], v[24:25]
	v_mov_b32_e32 v24, 0x7c89e6b0
	v_mov_b32_e32 v25, 0x3efa0199
	;; [unrolled: 3-line block ×8, first 2 shown]
	v_fmac_f64_e32 v[24:25], v[22:23], v[26:27]
	s_mov_b32 s6, 0
	v_fma_f64 v[24:25], v[22:23], v[24:25], 1.0
	s_mov_b32 s7, 0x40900000
	v_fma_f64 v[22:23], v[22:23], v[24:25], 1.0
	v_cvt_i32_f64_e32 v1, v[18:19]
	v_cmp_ngt_f64_e64 vcc, |v[16:17]|, s[6:7]
	s_mov_b32 s6, 0
	v_ldexp_f64 v[18:19], v[22:23], v1
	v_mov_b32_e32 v1, 0x7ff00000
	s_brev_b32 s7, 8
	v_cndmask_b32_e32 v19, v1, v19, vcc
	v_cndmask_b32_e32 v18, 0, v18, vcc
	v_cmp_lt_f64_e64 vcc, |v[16:17]|, s[6:7]
	v_cndmask_b32_e64 v1, 0, 1, vcc
	v_lshlrev_b32_e32 v1, 8, v1
	v_ldexp_f64 v[16:17], |v[16:17]|, v1
	v_rsq_f64_e32 v[22:23], v[16:17]
	v_add_f64 v[12:13], v[12:13], -v[20:21]
	v_mul_f64 v[12:13], v[12:13], 0.5
	v_mul_f64 v[12:13], v[18:19], v[12:13]
	v_mul_f64 v[18:19], v[16:17], v[22:23]
	v_mul_f64 v[20:21], v[22:23], 0.5
	v_fma_f64 v[22:23], -v[20:21], v[18:19], 0.5
	v_fmac_f64_e32 v[18:19], v[18:19], v[22:23]
	v_fma_f64 v[24:25], -v[18:19], v[18:19], v[16:17]
	v_fmac_f64_e32 v[20:21], v[20:21], v[22:23]
	v_fmac_f64_e32 v[18:19], v[24:25], v[20:21]
	v_fma_f64 v[22:23], -v[18:19], v[18:19], v[16:17]
	v_mov_b32_e32 v1, 0xffffff80
	v_fmac_f64_e32 v[18:19], v[22:23], v[20:21]
	v_cndmask_b32_e32 v1, 0, v1, vcc
	v_ldexp_f64 v[18:19], v[18:19], v1
	v_mov_b32_e32 v1, 0x260
	v_cmp_class_f64_e32 vcc, v[16:17], v1
	v_cndmask_b32_e32 v17, v19, v17, vcc
	v_cndmask_b32_e32 v16, v18, v16, vcc
	v_div_scale_f64 v[18:19], s[6:7], v[16:17], v[16:17], v[12:13]
	v_rcp_f64_e32 v[20:21], v[18:19]
	v_fma_f64 v[22:23], -v[18:19], v[20:21], 1.0
	v_fmac_f64_e32 v[20:21], v[20:21], v[22:23]
	v_fma_f64 v[22:23], -v[18:19], v[20:21], 1.0
	v_fmac_f64_e32 v[20:21], v[20:21], v[22:23]
	v_div_scale_f64 v[22:23], vcc, v[12:13], v[16:17], v[12:13]
	v_mul_f64 v[24:25], v[22:23], v[20:21]
	v_fma_f64 v[18:19], -v[18:19], v[24:25], v[22:23]
	s_nop 1
	v_div_fmas_f64 v[18:19], v[18:19], v[20:21], v[24:25]
	v_div_fixup_f64 v[12:13], v[18:19], v[16:17], v[12:13]
.LBB7_86:
	s_or_b64 exec, exec, s[4:5]
	global_load_dwordx2 v[8:9], v8, s[2:3]
	s_mov_b32 s2, 0
	s_mov_b32 s3, 0x40200000
                                        ; implicit-def: $vgpr16_vgpr17
	s_waitcnt vmcnt(0)
	v_cmp_le_f64_e64 s[2:3], |v[8:9]|, s[2:3]
	s_and_saveexec_b64 s[4:5], s[2:3]
	s_xor_b64 s[2:3], exec, s[4:5]
	s_cbranch_execz .LBB7_88
; %bb.87:
	s_mov_b32 s4, 0x2134d0ef
	v_fma_f64 v[16:17], |v[8:9]|, 0.5, -2.0
	v_mov_b32_e32 v18, 0x977da589
	v_mov_b32_e32 v19, 0x3c833362
	s_mov_b32 s5, 0xbc545cb7
	v_fmac_f64_e32 v[18:19], s[4:5], v[16:17]
	v_mov_b32_e32 v20, 0x2134d0ef
	v_mov_b32_e32 v21, 0x3c545cb7
	s_mov_b32 s4, 0x721ebbb4
	v_fmac_f64_e32 v[20:21], v[16:17], v[18:19]
	s_mov_b32 s5, 0xbcb184eb
	v_add_f64 v[20:21], v[20:21], s[4:5]
	s_mov_b32 s4, 0x93f65eba
	v_fma_f64 v[18:19], v[16:17], v[20:21], -v[18:19]
	s_mov_b32 s5, 0x3cdee6d8
	v_add_f64 v[18:19], v[18:19], s[4:5]
	s_mov_b32 s4, 0xc297fbeb
	v_fma_f64 v[20:21], v[16:17], v[18:19], -v[20:21]
	;; [unrolled: 4-line block ×27, first 2 shown]
	s_mov_b32 s5, 0x3fe5a84e
	v_add_f64 v[16:17], v[16:17], s[4:5]
	s_mov_b32 s4, 0x652b82fe
	s_mov_b32 s5, 0x3ff71547
	v_mul_f64 v[20:21], |v[8:9]|, s[4:5]
	s_mov_b32 s4, 0xfefa39ef
	v_rndne_f64_e32 v[20:21], v[20:21]
	s_mov_b32 s5, 0xbfe62e42
	v_fma_f64 v[22:23], v[20:21], s[4:5], |v[8:9]|
	s_mov_b32 s4, 0x3b39803f
	s_mov_b32 s5, 0xbc7abc9e
	v_fmac_f64_e32 v[22:23], s[4:5], v[20:21]
	s_mov_b32 s4, 0x6a5dcb37
	v_mov_b32_e32 v24, 0xfca7ab0c
	v_mov_b32_e32 v25, 0x3e928af3
	s_mov_b32 s5, 0x3e5ade15
	v_fmac_f64_e32 v[24:25], s[4:5], v[22:23]
	v_mov_b32_e32 v26, 0x623fde64
	v_mov_b32_e32 v27, 0x3ec71dee
	v_fmac_f64_e32 v[26:27], v[22:23], v[24:25]
	v_mov_b32_e32 v24, 0x7c89e6b0
	v_mov_b32_e32 v25, 0x3efa0199
	;; [unrolled: 3-line block ×8, first 2 shown]
	v_fmac_f64_e32 v[24:25], v[22:23], v[26:27]
	v_fma_f64 v[24:25], v[22:23], v[24:25], 1.0
	s_mov_b32 s4, 0
	v_fma_f64 v[22:23], v[22:23], v[24:25], 1.0
	v_cvt_i32_f64_e32 v1, v[20:21]
	s_mov_b32 s5, 0x40900000
	v_ldexp_f64 v[20:21], v[22:23], v1
	v_mov_b32_e32 v1, 0x7ff00000
	v_cmp_ngt_f64_e64 vcc, |v[8:9]|, s[4:5]
	v_add_f64 v[16:17], v[16:17], -v[18:19]
	v_cndmask_b32_e32 v9, v1, v21, vcc
	v_cndmask_b32_e32 v8, 0, v20, vcc
	v_mul_f64 v[16:17], v[16:17], 0.5
	v_mul_f64 v[16:17], v[8:9], v[16:17]
                                        ; implicit-def: $vgpr8_vgpr9
.LBB7_88:
	s_andn2_saveexec_b64 s[2:3], s[2:3]
	s_cbranch_execz .LBB7_90
; %bb.89:
	s_mov_b32 s4, 0
	v_and_b32_e32 v17, 0x7fffffff, v9
	v_mov_b32_e32 v16, v8
	s_mov_b32 s5, 0x40400000
	v_div_scale_f64 v[18:19], s[6:7], v[16:17], v[16:17], s[4:5]
	v_rcp_f64_e32 v[20:21], v[18:19]
	v_div_scale_f64 v[16:17], vcc, s[4:5], v[16:17], s[4:5]
	v_mov_b32_e32 v24, 0xfca7ab0c
	v_fma_f64 v[22:23], -v[18:19], v[20:21], 1.0
	v_fmac_f64_e32 v[20:21], v[20:21], v[22:23]
	v_fma_f64 v[22:23], -v[18:19], v[20:21], 1.0
	v_fmac_f64_e32 v[20:21], v[20:21], v[22:23]
	v_mul_f64 v[22:23], v[16:17], v[20:21]
	v_fma_f64 v[16:17], -v[18:19], v[22:23], v[16:17]
	v_div_fmas_f64 v[16:17], v[16:17], v[20:21], v[22:23]
	v_div_fixup_f64 v[16:17], v[16:17], |v[8:9]|, s[4:5]
	s_mov_b32 s4, 0x54ca8b19
	v_add_f64 v[16:17], v[16:17], -2.0
	v_mov_b32_e32 v18, 0x66119130
	v_mov_b32_e32 v19, 0xbc5646da
	s_mov_b32 s5, 0xbc60adb7
	v_fmac_f64_e32 v[18:19], s[4:5], v[16:17]
	v_mov_b32_e32 v20, 0x54ca8b19
	v_mov_b32_e32 v21, 0x3c60adb7
	s_mov_b32 s4, 0x12d98421
	v_fmac_f64_e32 v[20:21], v[16:17], v[18:19]
	s_mov_b32 s5, 0x3c89be18
	v_add_f64 v[20:21], v[20:21], s[4:5]
	s_mov_b32 s4, 0x76041cd
	v_fma_f64 v[18:19], v[16:17], v[20:21], -v[18:19]
	s_mov_b32 s5, 0x3c83f3dd
	v_add_f64 v[18:19], v[18:19], s[4:5]
	s_mov_b32 s4, 0xabd21fe4
	v_fma_f64 v[20:21], v[16:17], v[18:19], -v[20:21]
	;; [unrolled: 4-line block ×22, first 2 shown]
	s_mov_b32 s5, 0x3fe9be62
	v_add_f64 v[16:17], v[16:17], s[4:5]
	s_mov_b32 s4, 0x652b82fe
	s_mov_b32 s5, 0x3ff71547
	v_mul_f64 v[18:19], |v[8:9]|, s[4:5]
	s_mov_b32 s4, 0xfefa39ef
	v_rndne_f64_e32 v[18:19], v[18:19]
	s_mov_b32 s5, 0xbfe62e42
	v_fma_f64 v[22:23], v[18:19], s[4:5], |v[8:9]|
	s_mov_b32 s4, 0x3b39803f
	s_mov_b32 s5, 0xbc7abc9e
	v_fmac_f64_e32 v[22:23], s[4:5], v[18:19]
	s_mov_b32 s4, 0x6a5dcb37
	v_mov_b32_e32 v25, 0x3e928af3
	s_mov_b32 s5, 0x3e5ade15
	v_fmac_f64_e32 v[24:25], s[4:5], v[22:23]
	v_mov_b32_e32 v26, 0x623fde64
	v_mov_b32_e32 v27, 0x3ec71dee
	v_fmac_f64_e32 v[26:27], v[22:23], v[24:25]
	v_mov_b32_e32 v24, 0x7c89e6b0
	v_mov_b32_e32 v25, 0x3efa0199
	;; [unrolled: 3-line block ×8, first 2 shown]
	v_fmac_f64_e32 v[24:25], v[22:23], v[26:27]
	s_mov_b32 s4, 0
	v_fma_f64 v[24:25], v[22:23], v[24:25], 1.0
	s_mov_b32 s5, 0x40900000
	v_fma_f64 v[22:23], v[22:23], v[24:25], 1.0
	v_cvt_i32_f64_e32 v1, v[18:19]
	v_cmp_ngt_f64_e64 vcc, |v[8:9]|, s[4:5]
	s_mov_b32 s4, 0
	v_ldexp_f64 v[18:19], v[22:23], v1
	v_mov_b32_e32 v1, 0x7ff00000
	s_brev_b32 s5, 8
	v_cndmask_b32_e32 v19, v1, v19, vcc
	v_cndmask_b32_e32 v18, 0, v18, vcc
	v_cmp_lt_f64_e64 vcc, |v[8:9]|, s[4:5]
	v_cndmask_b32_e64 v1, 0, 1, vcc
	v_lshlrev_b32_e32 v1, 8, v1
	v_ldexp_f64 v[8:9], |v[8:9]|, v1
	v_rsq_f64_e32 v[22:23], v[8:9]
	v_add_f64 v[16:17], v[16:17], -v[20:21]
	v_mul_f64 v[16:17], v[16:17], 0.5
	v_mul_f64 v[16:17], v[18:19], v[16:17]
	v_mul_f64 v[18:19], v[8:9], v[22:23]
	v_mul_f64 v[20:21], v[22:23], 0.5
	v_fma_f64 v[22:23], -v[20:21], v[18:19], 0.5
	v_fmac_f64_e32 v[18:19], v[18:19], v[22:23]
	v_fma_f64 v[24:25], -v[18:19], v[18:19], v[8:9]
	v_fmac_f64_e32 v[20:21], v[20:21], v[22:23]
	v_fmac_f64_e32 v[18:19], v[24:25], v[20:21]
	v_fma_f64 v[22:23], -v[18:19], v[18:19], v[8:9]
	v_mov_b32_e32 v1, 0xffffff80
	v_fmac_f64_e32 v[18:19], v[22:23], v[20:21]
	v_cndmask_b32_e32 v1, 0, v1, vcc
	v_ldexp_f64 v[18:19], v[18:19], v1
	v_mov_b32_e32 v1, 0x260
	v_cmp_class_f64_e32 vcc, v[8:9], v1
	v_cndmask_b32_e32 v9, v19, v9, vcc
	v_cndmask_b32_e32 v8, v18, v8, vcc
	v_div_scale_f64 v[18:19], s[4:5], v[8:9], v[8:9], v[16:17]
	v_rcp_f64_e32 v[20:21], v[18:19]
	v_fma_f64 v[22:23], -v[18:19], v[20:21], 1.0
	v_fmac_f64_e32 v[20:21], v[20:21], v[22:23]
	v_fma_f64 v[22:23], -v[18:19], v[20:21], 1.0
	v_fmac_f64_e32 v[20:21], v[20:21], v[22:23]
	v_div_scale_f64 v[22:23], vcc, v[16:17], v[8:9], v[16:17]
	v_mul_f64 v[24:25], v[22:23], v[20:21]
	v_fma_f64 v[18:19], -v[18:19], v[24:25], v[22:23]
	s_nop 1
	v_div_fmas_f64 v[18:19], v[18:19], v[20:21], v[24:25]
	v_div_fixup_f64 v[16:17], v[18:19], v[8:9], v[16:17]
.LBB7_90:
	s_or_b64 exec, exec, s[2:3]
	global_store_dwordx2 v0, v[10:11], s[0:1]
	global_store_dwordx2 v2, v[14:15], s[0:1]
	;; [unrolled: 1-line block ×4, first 2 shown]
	s_endpgm
.LBB7_91:
	s_mov_b32 s51, s50
	v_pk_mov_b32 v[0:1], s[50:51], s[50:51] op_sel:[0,1]
                                        ; implicit-def: $vgpr2
	v_mov_b32_e32 v3, v6
.LBB7_92:
	s_and_b32 s12, s59, 3
	s_cmp_eq_u32 s12, 0
	s_cbranch_scc1 .LBB7_96
; %bb.93:
	s_lshl_b32 s8, s50, 3
	s_add_u32 s8, s8, s4
	s_addc_u32 s9, s5, 0
	s_add_u32 s8, s8, 0xc4
	s_addc_u32 s9, s9, 0
	s_mul_i32 s10, s50, 12
	s_add_u32 s10, s4, s10
	s_addc_u32 s11, s5, 0
.LBB7_94:                               ; =>This Inner Loop Header: Depth=1
	s_load_dwordx2 s[14:15], s[10:11], 0x4
	s_load_dword s13, s[10:11], 0xc
	s_load_dwordx2 s[16:17], s[8:9], 0x0
	v_mov_b32_e32 v2, v1
	s_add_u32 s10, s10, 12
	s_waitcnt lgkmcnt(0)
	v_mul_hi_u32 v1, s15, v3
	v_add_u32_e32 v1, v3, v1
	v_lshrrev_b32_e32 v1, s13, v1
	s_addc_u32 s11, s11, 0
	v_mul_lo_u32 v4, v1, s14
	s_add_u32 s8, s8, 8
	v_sub_u32_e32 v7, v3, v4
	v_mov_b32_e32 v3, v1
	s_addc_u32 s9, s9, 0
	s_add_i32 s12, s12, -1
	v_mad_u64_u32 v[4:5], s[14:15], v7, s17, v[2:3]
	v_mad_u64_u32 v[0:1], s[14:15], v7, s16, v[0:1]
	s_cmp_lg_u32 s12, 0
	v_mov_b32_e32 v1, v4
	s_cbranch_scc1 .LBB7_94
; %bb.95:
	v_mov_b32_e32 v2, v1
.LBB7_96:
	s_cbranch_execnz .LBB7_99
.LBB7_97:
	s_waitcnt lgkmcnt(0)
	v_mul_hi_u32 v0, s29, v6
	v_add_u32_e32 v0, v6, v0
	v_lshrrev_b32_e32 v1, s30, v0
	v_mul_lo_u32 v0, v1, s28
	v_sub_u32_e32 v0, v6, v0
	v_mul_lo_u32 v2, v0, s25
	s_andn2_b64 vcc, exec, s[42:43]
	v_mul_lo_u32 v0, v0, s24
	s_cbranch_vccnz .LBB7_99
; %bb.98:
	v_mul_hi_u32 v3, s40, v1
	v_add_u32_e32 v3, v1, v3
	v_lshrrev_b32_e32 v3, s41, v3
	v_mul_lo_u32 v3, v3, s31
	v_sub_u32_e32 v3, v1, v3
	v_mad_u64_u32 v[0:1], s[8:9], v3, s26, v[0:1]
	v_mad_u64_u32 v[2:3], s[8:9], v3, s27, v[2:3]
.LBB7_99:
	s_waitcnt lgkmcnt(0)
	global_load_dwordx2 v[2:3], v2, s[2:3]
	s_mov_b32 s8, 0
	s_mov_b32 s9, 0x40200000
                                        ; implicit-def: $vgpr4_vgpr5
	s_waitcnt vmcnt(0)
	v_cmp_le_f64_e64 s[8:9], |v[2:3]|, s[8:9]
	s_and_saveexec_b64 s[10:11], s[8:9]
	s_xor_b64 s[8:9], exec, s[10:11]
	s_cbranch_execz .LBB7_101
; %bb.100:
	s_mov_b32 s10, 0x2134d0ef
	v_fma_f64 v[4:5], |v[2:3]|, 0.5, -2.0
	v_mov_b32_e32 v8, 0x977da589
	v_mov_b32_e32 v9, 0x3c833362
	s_mov_b32 s11, 0xbc545cb7
	v_fmac_f64_e32 v[8:9], s[10:11], v[4:5]
	v_mov_b32_e32 v10, 0x2134d0ef
	v_mov_b32_e32 v11, 0x3c545cb7
	s_mov_b32 s10, 0x721ebbb4
	v_fmac_f64_e32 v[10:11], v[4:5], v[8:9]
	s_mov_b32 s11, 0xbcb184eb
	v_add_f64 v[10:11], v[10:11], s[10:11]
	s_mov_b32 s10, 0x93f65eba
	v_fma_f64 v[8:9], v[4:5], v[10:11], -v[8:9]
	s_mov_b32 s11, 0x3cdee6d8
	v_add_f64 v[8:9], v[8:9], s[10:11]
	s_mov_b32 s10, 0xc297fbeb
	v_fma_f64 v[10:11], v[4:5], v[8:9], -v[10:11]
	;; [unrolled: 4-line block ×27, first 2 shown]
	s_mov_b32 s11, 0x3fe5a84e
	v_add_f64 v[4:5], v[4:5], s[10:11]
	s_mov_b32 s10, 0x652b82fe
	s_mov_b32 s11, 0x3ff71547
	v_mul_f64 v[10:11], |v[2:3]|, s[10:11]
	s_mov_b32 s10, 0xfefa39ef
	v_rndne_f64_e32 v[10:11], v[10:11]
	s_mov_b32 s11, 0xbfe62e42
	v_fma_f64 v[12:13], v[10:11], s[10:11], |v[2:3]|
	s_mov_b32 s10, 0x3b39803f
	s_mov_b32 s11, 0xbc7abc9e
	v_fmac_f64_e32 v[12:13], s[10:11], v[10:11]
	s_mov_b32 s10, 0x6a5dcb37
	v_mov_b32_e32 v14, 0xfca7ab0c
	v_mov_b32_e32 v15, 0x3e928af3
	s_mov_b32 s11, 0x3e5ade15
	v_fmac_f64_e32 v[14:15], s[10:11], v[12:13]
	v_mov_b32_e32 v16, 0x623fde64
	v_mov_b32_e32 v17, 0x3ec71dee
	v_fmac_f64_e32 v[16:17], v[12:13], v[14:15]
	v_mov_b32_e32 v14, 0x7c89e6b0
	v_mov_b32_e32 v15, 0x3efa0199
	;; [unrolled: 3-line block ×8, first 2 shown]
	v_fmac_f64_e32 v[14:15], v[12:13], v[16:17]
	v_fma_f64 v[14:15], v[12:13], v[14:15], 1.0
	s_mov_b32 s10, 0
	v_fma_f64 v[12:13], v[12:13], v[14:15], 1.0
	v_cvt_i32_f64_e32 v1, v[10:11]
	s_mov_b32 s11, 0x40900000
	v_ldexp_f64 v[10:11], v[12:13], v1
	v_mov_b32_e32 v1, 0x7ff00000
	v_cmp_ngt_f64_e64 vcc, |v[2:3]|, s[10:11]
	v_add_f64 v[4:5], v[4:5], -v[8:9]
	v_cndmask_b32_e32 v3, v1, v11, vcc
	v_cndmask_b32_e32 v2, 0, v10, vcc
	v_mul_f64 v[4:5], v[4:5], 0.5
	v_mul_f64 v[4:5], v[2:3], v[4:5]
                                        ; implicit-def: $vgpr2_vgpr3
.LBB7_101:
	s_andn2_saveexec_b64 s[8:9], s[8:9]
	s_cbranch_execz .LBB7_103
; %bb.102:
	s_mov_b32 s10, 0
	v_and_b32_e32 v5, 0x7fffffff, v3
	v_mov_b32_e32 v4, v2
	s_mov_b32 s11, 0x40400000
	v_div_scale_f64 v[8:9], s[12:13], v[4:5], v[4:5], s[10:11]
	v_rcp_f64_e32 v[10:11], v[8:9]
	v_div_scale_f64 v[4:5], vcc, s[10:11], v[4:5], s[10:11]
	v_mov_b32_e32 v14, 0xfca7ab0c
	v_fma_f64 v[12:13], -v[8:9], v[10:11], 1.0
	v_fmac_f64_e32 v[10:11], v[10:11], v[12:13]
	v_fma_f64 v[12:13], -v[8:9], v[10:11], 1.0
	v_fmac_f64_e32 v[10:11], v[10:11], v[12:13]
	v_mul_f64 v[12:13], v[4:5], v[10:11]
	v_fma_f64 v[4:5], -v[8:9], v[12:13], v[4:5]
	v_div_fmas_f64 v[4:5], v[4:5], v[10:11], v[12:13]
	v_div_fixup_f64 v[4:5], v[4:5], |v[2:3]|, s[10:11]
	s_mov_b32 s10, 0x54ca8b19
	v_add_f64 v[4:5], v[4:5], -2.0
	v_mov_b32_e32 v8, 0x66119130
	v_mov_b32_e32 v9, 0xbc5646da
	s_mov_b32 s11, 0xbc60adb7
	v_fmac_f64_e32 v[8:9], s[10:11], v[4:5]
	v_mov_b32_e32 v10, 0x54ca8b19
	v_mov_b32_e32 v11, 0x3c60adb7
	s_mov_b32 s10, 0x12d98421
	v_fmac_f64_e32 v[10:11], v[4:5], v[8:9]
	s_mov_b32 s11, 0x3c89be18
	v_add_f64 v[10:11], v[10:11], s[10:11]
	s_mov_b32 s10, 0x76041cd
	v_fma_f64 v[8:9], v[4:5], v[10:11], -v[8:9]
	s_mov_b32 s11, 0x3c83f3dd
	v_add_f64 v[8:9], v[8:9], s[10:11]
	s_mov_b32 s10, 0xabd21fe4
	v_fma_f64 v[10:11], v[4:5], v[8:9], -v[10:11]
	;; [unrolled: 4-line block ×22, first 2 shown]
	s_mov_b32 s11, 0x3fe9be62
	v_add_f64 v[4:5], v[4:5], s[10:11]
	s_mov_b32 s10, 0x652b82fe
	s_mov_b32 s11, 0x3ff71547
	v_mul_f64 v[8:9], |v[2:3]|, s[10:11]
	s_mov_b32 s10, 0xfefa39ef
	v_rndne_f64_e32 v[8:9], v[8:9]
	s_mov_b32 s11, 0xbfe62e42
	v_fma_f64 v[12:13], v[8:9], s[10:11], |v[2:3]|
	s_mov_b32 s10, 0x3b39803f
	s_mov_b32 s11, 0xbc7abc9e
	v_fmac_f64_e32 v[12:13], s[10:11], v[8:9]
	s_mov_b32 s10, 0x6a5dcb37
	v_mov_b32_e32 v15, 0x3e928af3
	s_mov_b32 s11, 0x3e5ade15
	v_fmac_f64_e32 v[14:15], s[10:11], v[12:13]
	v_mov_b32_e32 v16, 0x623fde64
	v_mov_b32_e32 v17, 0x3ec71dee
	v_fmac_f64_e32 v[16:17], v[12:13], v[14:15]
	v_mov_b32_e32 v14, 0x7c89e6b0
	v_mov_b32_e32 v15, 0x3efa0199
	v_fmac_f64_e32 v[14:15], v[12:13], v[16:17]
	v_mov_b32_e32 v16, 0x14761f6e
	v_mov_b32_e32 v17, 0x3f2a01a0
	v_fmac_f64_e32 v[16:17], v[12:13], v[14:15]
	v_mov_b32_e32 v14, 0x1852b7b0
	v_mov_b32_e32 v15, 0x3f56c16c
	v_fmac_f64_e32 v[14:15], v[12:13], v[16:17]
	v_mov_b32_e32 v16, 0x11122322
	v_mov_b32_e32 v17, 0x3f811111
	v_fmac_f64_e32 v[16:17], v[12:13], v[14:15]
	v_mov_b32_e32 v14, 0x555502a1
	v_mov_b32_e32 v15, 0x3fa55555
	v_fmac_f64_e32 v[14:15], v[12:13], v[16:17]
	v_mov_b32_e32 v16, 0x55555511
	v_mov_b32_e32 v17, 0x3fc55555
	v_fmac_f64_e32 v[16:17], v[12:13], v[14:15]
	v_mov_b32_e32 v14, 11
	v_mov_b32_e32 v15, 0x3fe00000
	v_fmac_f64_e32 v[14:15], v[12:13], v[16:17]
	s_mov_b32 s10, 0
	v_fma_f64 v[14:15], v[12:13], v[14:15], 1.0
	s_mov_b32 s11, 0x40900000
	v_fma_f64 v[12:13], v[12:13], v[14:15], 1.0
	v_cvt_i32_f64_e32 v1, v[8:9]
	v_cmp_ngt_f64_e64 vcc, |v[2:3]|, s[10:11]
	s_mov_b32 s10, 0
	v_ldexp_f64 v[8:9], v[12:13], v1
	v_mov_b32_e32 v1, 0x7ff00000
	s_brev_b32 s11, 8
	v_cndmask_b32_e32 v9, v1, v9, vcc
	v_cndmask_b32_e32 v8, 0, v8, vcc
	v_cmp_lt_f64_e64 vcc, |v[2:3]|, s[10:11]
	v_cndmask_b32_e64 v1, 0, 1, vcc
	v_lshlrev_b32_e32 v1, 8, v1
	v_ldexp_f64 v[2:3], |v[2:3]|, v1
	v_rsq_f64_e32 v[12:13], v[2:3]
	v_add_f64 v[4:5], v[4:5], -v[10:11]
	v_mul_f64 v[4:5], v[4:5], 0.5
	v_mul_f64 v[4:5], v[8:9], v[4:5]
	v_mul_f64 v[8:9], v[2:3], v[12:13]
	v_mul_f64 v[10:11], v[12:13], 0.5
	v_fma_f64 v[12:13], -v[10:11], v[8:9], 0.5
	v_fmac_f64_e32 v[8:9], v[8:9], v[12:13]
	v_fma_f64 v[14:15], -v[8:9], v[8:9], v[2:3]
	v_fmac_f64_e32 v[10:11], v[10:11], v[12:13]
	v_fmac_f64_e32 v[8:9], v[14:15], v[10:11]
	v_fma_f64 v[12:13], -v[8:9], v[8:9], v[2:3]
	v_mov_b32_e32 v1, 0xffffff80
	v_fmac_f64_e32 v[8:9], v[12:13], v[10:11]
	v_cndmask_b32_e32 v1, 0, v1, vcc
	v_ldexp_f64 v[8:9], v[8:9], v1
	v_mov_b32_e32 v1, 0x260
	v_cmp_class_f64_e32 vcc, v[2:3], v1
	v_cndmask_b32_e32 v3, v9, v3, vcc
	v_cndmask_b32_e32 v2, v8, v2, vcc
	v_div_scale_f64 v[8:9], s[10:11], v[2:3], v[2:3], v[4:5]
	v_rcp_f64_e32 v[10:11], v[8:9]
	v_fma_f64 v[12:13], -v[8:9], v[10:11], 1.0
	v_fmac_f64_e32 v[10:11], v[10:11], v[12:13]
	v_fma_f64 v[12:13], -v[8:9], v[10:11], 1.0
	v_fmac_f64_e32 v[10:11], v[10:11], v[12:13]
	v_div_scale_f64 v[12:13], vcc, v[4:5], v[2:3], v[4:5]
	v_mul_f64 v[14:15], v[12:13], v[10:11]
	v_fma_f64 v[8:9], -v[8:9], v[14:15], v[12:13]
	s_nop 1
	v_div_fmas_f64 v[8:9], v[8:9], v[10:11], v[14:15]
	v_div_fixup_f64 v[4:5], v[8:9], v[2:3], v[4:5]
.LBB7_103:
	s_or_b64 exec, exec, s[8:9]
	v_add_u32_e32 v6, 0x80, v6
	global_store_dwordx2 v0, v[4:5], s[0:1]
	s_or_b64 exec, exec, s[48:49]
	v_cmp_gt_i32_e32 vcc, s57, v6
	s_and_saveexec_b64 s[48:49], vcc
	s_cbranch_execnz .LBB7_17
.LBB7_104:
	s_or_b64 exec, exec, s[48:49]
	v_cmp_gt_i32_e32 vcc, s57, v6
	s_and_saveexec_b64 s[48:49], vcc
	s_cbranch_execz .LBB7_125
.LBB7_105:
	s_andn2_b64 vcc, exec, s[6:7]
	s_cbranch_vccnz .LBB7_111
; %bb.106:
	s_mov_b32 s50, 0
	s_andn2_b64 vcc, exec, s[46:47]
	v_mov_b32_e32 v2, 0
	v_mov_b32_e32 v0, 0
	s_cbranch_vccnz .LBB7_133
; %bb.107:
	s_add_i32 s59, s58, 1
	s_cmp_eq_u32 s56, 2
	s_cbranch_scc1 .LBB7_128
; %bb.108:
	s_and_b32 s50, s59, 28
	s_mov_b32 s51, 0
	v_mov_b32_e32 v0, 0
	s_mov_b64 s[52:53], s[4:5]
	s_mov_b64 s[54:55], s[44:45]
	v_mov_b32_e32 v3, v6
	v_mov_b32_e32 v2, 0
.LBB7_109:                              ; =>This Inner Loop Header: Depth=1
	s_load_dwordx8 s[16:23], s[52:53], 0x4
	s_load_dwordx4 s[36:39], s[52:53], 0x24
	s_load_dwordx8 s[8:15], s[54:55], 0x0
	s_add_u32 s52, s52, 48
	s_addc_u32 s53, s53, 0
	s_waitcnt lgkmcnt(0)
	v_mul_hi_u32 v1, s17, v3
	v_add_u32_e32 v1, v3, v1
	v_lshrrev_b32_e32 v1, s18, v1
	v_mul_lo_u32 v4, v1, s16
	v_mul_hi_u32 v5, s20, v1
	v_sub_u32_e32 v3, v3, v4
	v_add_u32_e32 v4, v1, v5
	v_lshrrev_b32_e32 v4, s21, v4
	v_mul_lo_u32 v7, v4, s19
	v_mul_hi_u32 v8, s23, v4
	v_sub_u32_e32 v1, v1, v7
	v_add_u32_e32 v7, v4, v8
	v_mul_lo_u32 v5, v3, s9
	v_mul_lo_u32 v3, v3, s8
	;; [unrolled: 1-line block ×4, first 2 shown]
	v_lshrrev_b32_e32 v7, s36, v7
	v_add3_u32 v0, v3, v0, v1
	v_mul_hi_u32 v3, s38, v7
	v_add_u32_e32 v3, v7, v3
	v_lshrrev_b32_e32 v3, s39, v3
	s_add_i32 s51, s51, 4
	v_add3_u32 v1, v5, v2, v8
	v_mul_lo_u32 v2, v7, s22
	v_mul_lo_u32 v5, v3, s37
	s_add_u32 s54, s54, 32
	v_sub_u32_e32 v2, v4, v2
	v_sub_u32_e32 v5, v7, v5
	s_addc_u32 s55, s55, 0
	v_mul_lo_u32 v4, v2, s12
	v_mul_lo_u32 v2, v2, s13
	;; [unrolled: 1-line block ×4, first 2 shown]
	s_cmp_eq_u32 s50, s51
	v_add3_u32 v2, v2, v1, v5
	v_add3_u32 v0, v4, v0, v7
	s_cbranch_scc0 .LBB7_109
; %bb.110:
	v_mov_b32_e32 v1, v2
	s_branch .LBB7_129
.LBB7_111:
                                        ; implicit-def: $vgpr2
                                        ; implicit-def: $vgpr0
	s_branch .LBB7_134
.LBB7_112:
	s_mov_b32 s51, s50
	v_pk_mov_b32 v[0:1], s[50:51], s[50:51] op_sel:[0,1]
                                        ; implicit-def: $vgpr2
	v_mov_b32_e32 v3, v6
.LBB7_113:
	s_and_b32 s12, s59, 3
	s_cmp_eq_u32 s12, 0
	s_cbranch_scc1 .LBB7_117
; %bb.114:
	s_lshl_b32 s8, s50, 3
	s_add_u32 s8, s8, s4
	s_addc_u32 s9, s5, 0
	s_add_u32 s8, s8, 0xc4
	s_addc_u32 s9, s9, 0
	s_mul_i32 s10, s50, 12
	s_add_u32 s10, s4, s10
	s_addc_u32 s11, s5, 0
.LBB7_115:                              ; =>This Inner Loop Header: Depth=1
	s_load_dwordx2 s[14:15], s[10:11], 0x4
	s_load_dword s13, s[10:11], 0xc
	s_load_dwordx2 s[16:17], s[8:9], 0x0
	v_mov_b32_e32 v2, v1
	s_add_u32 s10, s10, 12
	s_waitcnt lgkmcnt(0)
	v_mul_hi_u32 v1, s15, v3
	v_add_u32_e32 v1, v3, v1
	v_lshrrev_b32_e32 v1, s13, v1
	s_addc_u32 s11, s11, 0
	v_mul_lo_u32 v4, v1, s14
	s_add_u32 s8, s8, 8
	v_sub_u32_e32 v7, v3, v4
	v_mov_b32_e32 v3, v1
	s_addc_u32 s9, s9, 0
	s_add_i32 s12, s12, -1
	v_mad_u64_u32 v[4:5], s[14:15], v7, s17, v[2:3]
	v_mad_u64_u32 v[0:1], s[14:15], v7, s16, v[0:1]
	s_cmp_lg_u32 s12, 0
	v_mov_b32_e32 v1, v4
	s_cbranch_scc1 .LBB7_115
; %bb.116:
	v_mov_b32_e32 v2, v1
.LBB7_117:
	s_cbranch_execnz .LBB7_120
.LBB7_118:
	s_waitcnt lgkmcnt(0)
	v_mul_hi_u32 v0, s29, v6
	v_add_u32_e32 v0, v6, v0
	v_lshrrev_b32_e32 v1, s30, v0
	v_mul_lo_u32 v0, v1, s28
	v_sub_u32_e32 v0, v6, v0
	v_mul_lo_u32 v2, v0, s25
	s_andn2_b64 vcc, exec, s[42:43]
	v_mul_lo_u32 v0, v0, s24
	s_cbranch_vccnz .LBB7_120
; %bb.119:
	v_mul_hi_u32 v3, s40, v1
	v_add_u32_e32 v3, v1, v3
	v_lshrrev_b32_e32 v3, s41, v3
	v_mul_lo_u32 v3, v3, s31
	v_sub_u32_e32 v3, v1, v3
	v_mad_u64_u32 v[0:1], s[8:9], v3, s26, v[0:1]
	v_mad_u64_u32 v[2:3], s[8:9], v3, s27, v[2:3]
.LBB7_120:
	s_waitcnt lgkmcnt(0)
	global_load_dwordx2 v[2:3], v2, s[2:3]
	s_mov_b32 s8, 0
	s_mov_b32 s9, 0x40200000
                                        ; implicit-def: $vgpr4_vgpr5
	s_waitcnt vmcnt(0)
	v_cmp_le_f64_e64 s[8:9], |v[2:3]|, s[8:9]
	s_and_saveexec_b64 s[10:11], s[8:9]
	s_xor_b64 s[8:9], exec, s[10:11]
	s_cbranch_execz .LBB7_122
; %bb.121:
	s_mov_b32 s10, 0x2134d0ef
	v_fma_f64 v[4:5], |v[2:3]|, 0.5, -2.0
	v_mov_b32_e32 v8, 0x977da589
	v_mov_b32_e32 v9, 0x3c833362
	s_mov_b32 s11, 0xbc545cb7
	v_fmac_f64_e32 v[8:9], s[10:11], v[4:5]
	v_mov_b32_e32 v10, 0x2134d0ef
	v_mov_b32_e32 v11, 0x3c545cb7
	s_mov_b32 s10, 0x721ebbb4
	v_fmac_f64_e32 v[10:11], v[4:5], v[8:9]
	s_mov_b32 s11, 0xbcb184eb
	v_add_f64 v[10:11], v[10:11], s[10:11]
	s_mov_b32 s10, 0x93f65eba
	v_fma_f64 v[8:9], v[4:5], v[10:11], -v[8:9]
	s_mov_b32 s11, 0x3cdee6d8
	v_add_f64 v[8:9], v[8:9], s[10:11]
	s_mov_b32 s10, 0xc297fbeb
	v_fma_f64 v[10:11], v[4:5], v[8:9], -v[10:11]
	;; [unrolled: 4-line block ×27, first 2 shown]
	s_mov_b32 s11, 0x3fe5a84e
	v_add_f64 v[4:5], v[4:5], s[10:11]
	s_mov_b32 s10, 0x652b82fe
	s_mov_b32 s11, 0x3ff71547
	v_mul_f64 v[10:11], |v[2:3]|, s[10:11]
	s_mov_b32 s10, 0xfefa39ef
	v_rndne_f64_e32 v[10:11], v[10:11]
	s_mov_b32 s11, 0xbfe62e42
	v_fma_f64 v[12:13], v[10:11], s[10:11], |v[2:3]|
	s_mov_b32 s10, 0x3b39803f
	s_mov_b32 s11, 0xbc7abc9e
	v_fmac_f64_e32 v[12:13], s[10:11], v[10:11]
	s_mov_b32 s10, 0x6a5dcb37
	v_mov_b32_e32 v14, 0xfca7ab0c
	v_mov_b32_e32 v15, 0x3e928af3
	s_mov_b32 s11, 0x3e5ade15
	v_fmac_f64_e32 v[14:15], s[10:11], v[12:13]
	v_mov_b32_e32 v16, 0x623fde64
	v_mov_b32_e32 v17, 0x3ec71dee
	v_fmac_f64_e32 v[16:17], v[12:13], v[14:15]
	v_mov_b32_e32 v14, 0x7c89e6b0
	v_mov_b32_e32 v15, 0x3efa0199
	;; [unrolled: 3-line block ×8, first 2 shown]
	v_fmac_f64_e32 v[14:15], v[12:13], v[16:17]
	v_fma_f64 v[14:15], v[12:13], v[14:15], 1.0
	s_mov_b32 s10, 0
	v_fma_f64 v[12:13], v[12:13], v[14:15], 1.0
	v_cvt_i32_f64_e32 v1, v[10:11]
	s_mov_b32 s11, 0x40900000
	v_ldexp_f64 v[10:11], v[12:13], v1
	v_mov_b32_e32 v1, 0x7ff00000
	v_cmp_ngt_f64_e64 vcc, |v[2:3]|, s[10:11]
	v_add_f64 v[4:5], v[4:5], -v[8:9]
	v_cndmask_b32_e32 v3, v1, v11, vcc
	v_cndmask_b32_e32 v2, 0, v10, vcc
	v_mul_f64 v[4:5], v[4:5], 0.5
	v_mul_f64 v[4:5], v[2:3], v[4:5]
                                        ; implicit-def: $vgpr2_vgpr3
.LBB7_122:
	s_andn2_saveexec_b64 s[8:9], s[8:9]
	s_cbranch_execz .LBB7_124
; %bb.123:
	s_mov_b32 s10, 0
	v_and_b32_e32 v5, 0x7fffffff, v3
	v_mov_b32_e32 v4, v2
	s_mov_b32 s11, 0x40400000
	v_div_scale_f64 v[8:9], s[12:13], v[4:5], v[4:5], s[10:11]
	v_rcp_f64_e32 v[10:11], v[8:9]
	v_div_scale_f64 v[4:5], vcc, s[10:11], v[4:5], s[10:11]
	v_mov_b32_e32 v14, 0xfca7ab0c
	v_fma_f64 v[12:13], -v[8:9], v[10:11], 1.0
	v_fmac_f64_e32 v[10:11], v[10:11], v[12:13]
	v_fma_f64 v[12:13], -v[8:9], v[10:11], 1.0
	v_fmac_f64_e32 v[10:11], v[10:11], v[12:13]
	v_mul_f64 v[12:13], v[4:5], v[10:11]
	v_fma_f64 v[4:5], -v[8:9], v[12:13], v[4:5]
	v_div_fmas_f64 v[4:5], v[4:5], v[10:11], v[12:13]
	v_div_fixup_f64 v[4:5], v[4:5], |v[2:3]|, s[10:11]
	s_mov_b32 s10, 0x54ca8b19
	v_add_f64 v[4:5], v[4:5], -2.0
	v_mov_b32_e32 v8, 0x66119130
	v_mov_b32_e32 v9, 0xbc5646da
	s_mov_b32 s11, 0xbc60adb7
	v_fmac_f64_e32 v[8:9], s[10:11], v[4:5]
	v_mov_b32_e32 v10, 0x54ca8b19
	v_mov_b32_e32 v11, 0x3c60adb7
	s_mov_b32 s10, 0x12d98421
	v_fmac_f64_e32 v[10:11], v[4:5], v[8:9]
	s_mov_b32 s11, 0x3c89be18
	v_add_f64 v[10:11], v[10:11], s[10:11]
	s_mov_b32 s10, 0x76041cd
	v_fma_f64 v[8:9], v[4:5], v[10:11], -v[8:9]
	s_mov_b32 s11, 0x3c83f3dd
	v_add_f64 v[8:9], v[8:9], s[10:11]
	s_mov_b32 s10, 0xabd21fe4
	v_fma_f64 v[10:11], v[4:5], v[8:9], -v[10:11]
	;; [unrolled: 4-line block ×22, first 2 shown]
	s_mov_b32 s11, 0x3fe9be62
	v_add_f64 v[4:5], v[4:5], s[10:11]
	s_mov_b32 s10, 0x652b82fe
	s_mov_b32 s11, 0x3ff71547
	v_mul_f64 v[8:9], |v[2:3]|, s[10:11]
	s_mov_b32 s10, 0xfefa39ef
	v_rndne_f64_e32 v[8:9], v[8:9]
	s_mov_b32 s11, 0xbfe62e42
	v_fma_f64 v[12:13], v[8:9], s[10:11], |v[2:3]|
	s_mov_b32 s10, 0x3b39803f
	s_mov_b32 s11, 0xbc7abc9e
	v_fmac_f64_e32 v[12:13], s[10:11], v[8:9]
	s_mov_b32 s10, 0x6a5dcb37
	v_mov_b32_e32 v15, 0x3e928af3
	s_mov_b32 s11, 0x3e5ade15
	v_fmac_f64_e32 v[14:15], s[10:11], v[12:13]
	v_mov_b32_e32 v16, 0x623fde64
	v_mov_b32_e32 v17, 0x3ec71dee
	v_fmac_f64_e32 v[16:17], v[12:13], v[14:15]
	v_mov_b32_e32 v14, 0x7c89e6b0
	v_mov_b32_e32 v15, 0x3efa0199
	;; [unrolled: 3-line block ×8, first 2 shown]
	v_fmac_f64_e32 v[14:15], v[12:13], v[16:17]
	s_mov_b32 s10, 0
	v_fma_f64 v[14:15], v[12:13], v[14:15], 1.0
	s_mov_b32 s11, 0x40900000
	v_fma_f64 v[12:13], v[12:13], v[14:15], 1.0
	v_cvt_i32_f64_e32 v1, v[8:9]
	v_cmp_ngt_f64_e64 vcc, |v[2:3]|, s[10:11]
	s_mov_b32 s10, 0
	v_ldexp_f64 v[8:9], v[12:13], v1
	v_mov_b32_e32 v1, 0x7ff00000
	s_brev_b32 s11, 8
	v_cndmask_b32_e32 v9, v1, v9, vcc
	v_cndmask_b32_e32 v8, 0, v8, vcc
	v_cmp_lt_f64_e64 vcc, |v[2:3]|, s[10:11]
	v_cndmask_b32_e64 v1, 0, 1, vcc
	v_lshlrev_b32_e32 v1, 8, v1
	v_ldexp_f64 v[2:3], |v[2:3]|, v1
	v_rsq_f64_e32 v[12:13], v[2:3]
	v_add_f64 v[4:5], v[4:5], -v[10:11]
	v_mul_f64 v[4:5], v[4:5], 0.5
	v_mul_f64 v[4:5], v[8:9], v[4:5]
	v_mul_f64 v[8:9], v[2:3], v[12:13]
	v_mul_f64 v[10:11], v[12:13], 0.5
	v_fma_f64 v[12:13], -v[10:11], v[8:9], 0.5
	v_fmac_f64_e32 v[8:9], v[8:9], v[12:13]
	v_fma_f64 v[14:15], -v[8:9], v[8:9], v[2:3]
	v_fmac_f64_e32 v[10:11], v[10:11], v[12:13]
	v_fmac_f64_e32 v[8:9], v[14:15], v[10:11]
	v_fma_f64 v[12:13], -v[8:9], v[8:9], v[2:3]
	v_mov_b32_e32 v1, 0xffffff80
	v_fmac_f64_e32 v[8:9], v[12:13], v[10:11]
	v_cndmask_b32_e32 v1, 0, v1, vcc
	v_ldexp_f64 v[8:9], v[8:9], v1
	v_mov_b32_e32 v1, 0x260
	v_cmp_class_f64_e32 vcc, v[2:3], v1
	v_cndmask_b32_e32 v3, v9, v3, vcc
	v_cndmask_b32_e32 v2, v8, v2, vcc
	v_div_scale_f64 v[8:9], s[10:11], v[2:3], v[2:3], v[4:5]
	v_rcp_f64_e32 v[10:11], v[8:9]
	v_fma_f64 v[12:13], -v[8:9], v[10:11], 1.0
	v_fmac_f64_e32 v[10:11], v[10:11], v[12:13]
	v_fma_f64 v[12:13], -v[8:9], v[10:11], 1.0
	v_fmac_f64_e32 v[10:11], v[10:11], v[12:13]
	v_div_scale_f64 v[12:13], vcc, v[4:5], v[2:3], v[4:5]
	v_mul_f64 v[14:15], v[12:13], v[10:11]
	v_fma_f64 v[8:9], -v[8:9], v[14:15], v[12:13]
	s_nop 1
	v_div_fmas_f64 v[8:9], v[8:9], v[10:11], v[14:15]
	v_div_fixup_f64 v[4:5], v[8:9], v[2:3], v[4:5]
.LBB7_124:
	s_or_b64 exec, exec, s[8:9]
	v_add_u32_e32 v6, 0x80, v6
	global_store_dwordx2 v0, v[4:5], s[0:1]
	s_or_b64 exec, exec, s[48:49]
	v_cmp_gt_i32_e32 vcc, s57, v6
	s_and_saveexec_b64 s[48:49], vcc
	s_cbranch_execnz .LBB7_105
.LBB7_125:
	s_or_b64 exec, exec, s[48:49]
	v_cmp_gt_i32_e32 vcc, s57, v6
	s_and_saveexec_b64 s[48:49], vcc
	s_cbranch_execnz .LBB7_141
.LBB7_126:
	s_or_b64 exec, exec, s[48:49]
                                        ; implicit-def: $vgpr9
                                        ; implicit-def: $vgpr6
	s_waitcnt lgkmcnt(0)
	s_andn2_saveexec_b64 s[0:1], s[34:35]
	s_cbranch_execnz .LBB7_9
.LBB7_127:
	s_endpgm
.LBB7_128:
	s_mov_b32 s51, s50
	v_pk_mov_b32 v[0:1], s[50:51], s[50:51] op_sel:[0,1]
                                        ; implicit-def: $vgpr2
	v_mov_b32_e32 v3, v6
.LBB7_129:
	s_and_b32 s12, s59, 3
	s_cmp_eq_u32 s12, 0
	s_cbranch_scc1 .LBB7_133
; %bb.130:
	s_lshl_b32 s8, s50, 3
	s_add_u32 s8, s8, s4
	s_addc_u32 s9, s5, 0
	s_add_u32 s8, s8, 0xc4
	s_addc_u32 s9, s9, 0
	s_mul_i32 s10, s50, 12
	s_add_u32 s10, s4, s10
	s_addc_u32 s11, s5, 0
.LBB7_131:                              ; =>This Inner Loop Header: Depth=1
	s_load_dwordx2 s[14:15], s[10:11], 0x4
	s_load_dword s13, s[10:11], 0xc
	s_load_dwordx2 s[16:17], s[8:9], 0x0
	v_mov_b32_e32 v2, v1
	s_add_u32 s10, s10, 12
	s_waitcnt lgkmcnt(0)
	v_mul_hi_u32 v1, s15, v3
	v_add_u32_e32 v1, v3, v1
	v_lshrrev_b32_e32 v1, s13, v1
	s_addc_u32 s11, s11, 0
	v_mul_lo_u32 v4, v1, s14
	s_add_u32 s8, s8, 8
	v_sub_u32_e32 v7, v3, v4
	v_mov_b32_e32 v3, v1
	s_addc_u32 s9, s9, 0
	s_add_i32 s12, s12, -1
	v_mad_u64_u32 v[4:5], s[14:15], v7, s17, v[2:3]
	v_mad_u64_u32 v[0:1], s[14:15], v7, s16, v[0:1]
	s_cmp_lg_u32 s12, 0
	v_mov_b32_e32 v1, v4
	s_cbranch_scc1 .LBB7_131
; %bb.132:
	v_mov_b32_e32 v2, v1
.LBB7_133:
	s_cbranch_execnz .LBB7_136
.LBB7_134:
	s_waitcnt lgkmcnt(0)
	v_mul_hi_u32 v0, s29, v6
	v_add_u32_e32 v0, v6, v0
	v_lshrrev_b32_e32 v1, s30, v0
	v_mul_lo_u32 v0, v1, s28
	v_sub_u32_e32 v0, v6, v0
	v_mul_lo_u32 v2, v0, s25
	s_andn2_b64 vcc, exec, s[42:43]
	v_mul_lo_u32 v0, v0, s24
	s_cbranch_vccnz .LBB7_136
; %bb.135:
	v_mul_hi_u32 v3, s40, v1
	v_add_u32_e32 v3, v1, v3
	v_lshrrev_b32_e32 v3, s41, v3
	v_mul_lo_u32 v3, v3, s31
	v_sub_u32_e32 v3, v1, v3
	v_mad_u64_u32 v[0:1], s[8:9], v3, s26, v[0:1]
	v_mad_u64_u32 v[2:3], s[8:9], v3, s27, v[2:3]
.LBB7_136:
	s_waitcnt lgkmcnt(0)
	global_load_dwordx2 v[2:3], v2, s[2:3]
	s_mov_b32 s8, 0
	s_mov_b32 s9, 0x40200000
                                        ; implicit-def: $vgpr4_vgpr5
	s_waitcnt vmcnt(0)
	v_cmp_le_f64_e64 s[8:9], |v[2:3]|, s[8:9]
	s_and_saveexec_b64 s[10:11], s[8:9]
	s_xor_b64 s[8:9], exec, s[10:11]
	s_cbranch_execz .LBB7_138
; %bb.137:
	s_mov_b32 s10, 0x2134d0ef
	v_fma_f64 v[4:5], |v[2:3]|, 0.5, -2.0
	v_mov_b32_e32 v8, 0x977da589
	v_mov_b32_e32 v9, 0x3c833362
	s_mov_b32 s11, 0xbc545cb7
	v_fmac_f64_e32 v[8:9], s[10:11], v[4:5]
	v_mov_b32_e32 v10, 0x2134d0ef
	v_mov_b32_e32 v11, 0x3c545cb7
	s_mov_b32 s10, 0x721ebbb4
	v_fmac_f64_e32 v[10:11], v[4:5], v[8:9]
	s_mov_b32 s11, 0xbcb184eb
	v_add_f64 v[10:11], v[10:11], s[10:11]
	s_mov_b32 s10, 0x93f65eba
	v_fma_f64 v[8:9], v[4:5], v[10:11], -v[8:9]
	s_mov_b32 s11, 0x3cdee6d8
	v_add_f64 v[8:9], v[8:9], s[10:11]
	s_mov_b32 s10, 0xc297fbeb
	v_fma_f64 v[10:11], v[4:5], v[8:9], -v[10:11]
	;; [unrolled: 4-line block ×27, first 2 shown]
	s_mov_b32 s11, 0x3fe5a84e
	v_add_f64 v[4:5], v[4:5], s[10:11]
	s_mov_b32 s10, 0x652b82fe
	s_mov_b32 s11, 0x3ff71547
	v_mul_f64 v[10:11], |v[2:3]|, s[10:11]
	s_mov_b32 s10, 0xfefa39ef
	v_rndne_f64_e32 v[10:11], v[10:11]
	s_mov_b32 s11, 0xbfe62e42
	v_fma_f64 v[12:13], v[10:11], s[10:11], |v[2:3]|
	s_mov_b32 s10, 0x3b39803f
	s_mov_b32 s11, 0xbc7abc9e
	v_fmac_f64_e32 v[12:13], s[10:11], v[10:11]
	s_mov_b32 s10, 0x6a5dcb37
	v_mov_b32_e32 v14, 0xfca7ab0c
	v_mov_b32_e32 v15, 0x3e928af3
	s_mov_b32 s11, 0x3e5ade15
	v_fmac_f64_e32 v[14:15], s[10:11], v[12:13]
	v_mov_b32_e32 v16, 0x623fde64
	v_mov_b32_e32 v17, 0x3ec71dee
	v_fmac_f64_e32 v[16:17], v[12:13], v[14:15]
	v_mov_b32_e32 v14, 0x7c89e6b0
	v_mov_b32_e32 v15, 0x3efa0199
	;; [unrolled: 3-line block ×8, first 2 shown]
	v_fmac_f64_e32 v[14:15], v[12:13], v[16:17]
	v_fma_f64 v[14:15], v[12:13], v[14:15], 1.0
	s_mov_b32 s10, 0
	v_fma_f64 v[12:13], v[12:13], v[14:15], 1.0
	v_cvt_i32_f64_e32 v1, v[10:11]
	s_mov_b32 s11, 0x40900000
	v_ldexp_f64 v[10:11], v[12:13], v1
	v_mov_b32_e32 v1, 0x7ff00000
	v_cmp_ngt_f64_e64 vcc, |v[2:3]|, s[10:11]
	v_add_f64 v[4:5], v[4:5], -v[8:9]
	v_cndmask_b32_e32 v3, v1, v11, vcc
	v_cndmask_b32_e32 v2, 0, v10, vcc
	v_mul_f64 v[4:5], v[4:5], 0.5
	v_mul_f64 v[4:5], v[2:3], v[4:5]
                                        ; implicit-def: $vgpr2_vgpr3
.LBB7_138:
	s_andn2_saveexec_b64 s[8:9], s[8:9]
	s_cbranch_execz .LBB7_140
; %bb.139:
	s_mov_b32 s10, 0
	v_and_b32_e32 v5, 0x7fffffff, v3
	v_mov_b32_e32 v4, v2
	s_mov_b32 s11, 0x40400000
	v_div_scale_f64 v[8:9], s[12:13], v[4:5], v[4:5], s[10:11]
	v_rcp_f64_e32 v[10:11], v[8:9]
	v_div_scale_f64 v[4:5], vcc, s[10:11], v[4:5], s[10:11]
	v_mov_b32_e32 v14, 0xfca7ab0c
	v_fma_f64 v[12:13], -v[8:9], v[10:11], 1.0
	v_fmac_f64_e32 v[10:11], v[10:11], v[12:13]
	v_fma_f64 v[12:13], -v[8:9], v[10:11], 1.0
	v_fmac_f64_e32 v[10:11], v[10:11], v[12:13]
	v_mul_f64 v[12:13], v[4:5], v[10:11]
	v_fma_f64 v[4:5], -v[8:9], v[12:13], v[4:5]
	v_div_fmas_f64 v[4:5], v[4:5], v[10:11], v[12:13]
	v_div_fixup_f64 v[4:5], v[4:5], |v[2:3]|, s[10:11]
	s_mov_b32 s10, 0x54ca8b19
	v_add_f64 v[4:5], v[4:5], -2.0
	v_mov_b32_e32 v8, 0x66119130
	v_mov_b32_e32 v9, 0xbc5646da
	s_mov_b32 s11, 0xbc60adb7
	v_fmac_f64_e32 v[8:9], s[10:11], v[4:5]
	v_mov_b32_e32 v10, 0x54ca8b19
	v_mov_b32_e32 v11, 0x3c60adb7
	s_mov_b32 s10, 0x12d98421
	v_fmac_f64_e32 v[10:11], v[4:5], v[8:9]
	s_mov_b32 s11, 0x3c89be18
	v_add_f64 v[10:11], v[10:11], s[10:11]
	s_mov_b32 s10, 0x76041cd
	v_fma_f64 v[8:9], v[4:5], v[10:11], -v[8:9]
	s_mov_b32 s11, 0x3c83f3dd
	v_add_f64 v[8:9], v[8:9], s[10:11]
	s_mov_b32 s10, 0xabd21fe4
	v_fma_f64 v[10:11], v[4:5], v[8:9], -v[10:11]
	;; [unrolled: 4-line block ×22, first 2 shown]
	s_mov_b32 s11, 0x3fe9be62
	v_add_f64 v[4:5], v[4:5], s[10:11]
	s_mov_b32 s10, 0x652b82fe
	s_mov_b32 s11, 0x3ff71547
	v_mul_f64 v[8:9], |v[2:3]|, s[10:11]
	s_mov_b32 s10, 0xfefa39ef
	v_rndne_f64_e32 v[8:9], v[8:9]
	s_mov_b32 s11, 0xbfe62e42
	v_fma_f64 v[12:13], v[8:9], s[10:11], |v[2:3]|
	s_mov_b32 s10, 0x3b39803f
	s_mov_b32 s11, 0xbc7abc9e
	v_fmac_f64_e32 v[12:13], s[10:11], v[8:9]
	s_mov_b32 s10, 0x6a5dcb37
	v_mov_b32_e32 v15, 0x3e928af3
	s_mov_b32 s11, 0x3e5ade15
	v_fmac_f64_e32 v[14:15], s[10:11], v[12:13]
	v_mov_b32_e32 v16, 0x623fde64
	v_mov_b32_e32 v17, 0x3ec71dee
	v_fmac_f64_e32 v[16:17], v[12:13], v[14:15]
	v_mov_b32_e32 v14, 0x7c89e6b0
	v_mov_b32_e32 v15, 0x3efa0199
	;; [unrolled: 3-line block ×8, first 2 shown]
	v_fmac_f64_e32 v[14:15], v[12:13], v[16:17]
	s_mov_b32 s10, 0
	v_fma_f64 v[14:15], v[12:13], v[14:15], 1.0
	s_mov_b32 s11, 0x40900000
	v_fma_f64 v[12:13], v[12:13], v[14:15], 1.0
	v_cvt_i32_f64_e32 v1, v[8:9]
	v_cmp_ngt_f64_e64 vcc, |v[2:3]|, s[10:11]
	s_mov_b32 s10, 0
	v_ldexp_f64 v[8:9], v[12:13], v1
	v_mov_b32_e32 v1, 0x7ff00000
	s_brev_b32 s11, 8
	v_cndmask_b32_e32 v9, v1, v9, vcc
	v_cndmask_b32_e32 v8, 0, v8, vcc
	v_cmp_lt_f64_e64 vcc, |v[2:3]|, s[10:11]
	v_cndmask_b32_e64 v1, 0, 1, vcc
	v_lshlrev_b32_e32 v1, 8, v1
	v_ldexp_f64 v[2:3], |v[2:3]|, v1
	v_rsq_f64_e32 v[12:13], v[2:3]
	v_add_f64 v[4:5], v[4:5], -v[10:11]
	v_mul_f64 v[4:5], v[4:5], 0.5
	v_mul_f64 v[4:5], v[8:9], v[4:5]
	v_mul_f64 v[8:9], v[2:3], v[12:13]
	v_mul_f64 v[10:11], v[12:13], 0.5
	v_fma_f64 v[12:13], -v[10:11], v[8:9], 0.5
	v_fmac_f64_e32 v[8:9], v[8:9], v[12:13]
	v_fma_f64 v[14:15], -v[8:9], v[8:9], v[2:3]
	v_fmac_f64_e32 v[10:11], v[10:11], v[12:13]
	v_fmac_f64_e32 v[8:9], v[14:15], v[10:11]
	v_fma_f64 v[12:13], -v[8:9], v[8:9], v[2:3]
	v_mov_b32_e32 v1, 0xffffff80
	v_fmac_f64_e32 v[8:9], v[12:13], v[10:11]
	v_cndmask_b32_e32 v1, 0, v1, vcc
	v_ldexp_f64 v[8:9], v[8:9], v1
	v_mov_b32_e32 v1, 0x260
	v_cmp_class_f64_e32 vcc, v[2:3], v1
	v_cndmask_b32_e32 v3, v9, v3, vcc
	v_cndmask_b32_e32 v2, v8, v2, vcc
	v_div_scale_f64 v[8:9], s[10:11], v[2:3], v[2:3], v[4:5]
	v_rcp_f64_e32 v[10:11], v[8:9]
	v_fma_f64 v[12:13], -v[8:9], v[10:11], 1.0
	v_fmac_f64_e32 v[10:11], v[10:11], v[12:13]
	v_fma_f64 v[12:13], -v[8:9], v[10:11], 1.0
	v_fmac_f64_e32 v[10:11], v[10:11], v[12:13]
	v_div_scale_f64 v[12:13], vcc, v[4:5], v[2:3], v[4:5]
	v_mul_f64 v[14:15], v[12:13], v[10:11]
	v_fma_f64 v[8:9], -v[8:9], v[14:15], v[12:13]
	s_nop 1
	v_div_fmas_f64 v[8:9], v[8:9], v[10:11], v[14:15]
	v_div_fixup_f64 v[4:5], v[8:9], v[2:3], v[4:5]
.LBB7_140:
	s_or_b64 exec, exec, s[8:9]
	v_add_u32_e32 v6, 0x80, v6
	global_store_dwordx2 v0, v[4:5], s[0:1]
	s_or_b64 exec, exec, s[48:49]
	v_cmp_gt_i32_e32 vcc, s57, v6
	s_and_saveexec_b64 s[48:49], vcc
	s_cbranch_execz .LBB7_126
.LBB7_141:
	s_andn2_b64 vcc, exec, s[6:7]
	s_cbranch_vccnz .LBB7_147
; %bb.142:
	s_mov_b32 s50, 0
	s_andn2_b64 vcc, exec, s[46:47]
	v_mov_b32_e32 v2, 0
	v_mov_b32_e32 v0, 0
	s_cbranch_vccnz .LBB7_153
; %bb.143:
	s_add_i32 s58, s58, 1
	s_cmp_eq_u32 s56, 2
	s_cbranch_scc1 .LBB7_148
; %bb.144:
	s_and_b32 s50, s58, 28
	s_mov_b32 s51, 0
	v_mov_b32_e32 v0, 0
	s_mov_b64 s[46:47], s[4:5]
	v_mov_b32_e32 v3, v6
	v_mov_b32_e32 v2, 0
.LBB7_145:                              ; =>This Inner Loop Header: Depth=1
	s_load_dwordx8 s[16:23], s[46:47], 0x4
	s_load_dwordx4 s[36:39], s[46:47], 0x24
	s_load_dwordx8 s[8:15], s[44:45], 0x0
	s_add_u32 s46, s46, 48
	s_addc_u32 s47, s47, 0
	s_waitcnt lgkmcnt(0)
	v_mul_hi_u32 v1, s17, v3
	v_add_u32_e32 v1, v3, v1
	v_lshrrev_b32_e32 v1, s18, v1
	v_mul_lo_u32 v4, v1, s16
	v_mul_hi_u32 v5, s20, v1
	v_sub_u32_e32 v3, v3, v4
	v_add_u32_e32 v4, v1, v5
	v_lshrrev_b32_e32 v4, s21, v4
	v_mul_lo_u32 v7, v4, s19
	v_mul_hi_u32 v8, s23, v4
	v_sub_u32_e32 v1, v1, v7
	v_add_u32_e32 v7, v4, v8
	v_mul_lo_u32 v5, v3, s9
	v_mul_lo_u32 v3, v3, s8
	;; [unrolled: 1-line block ×4, first 2 shown]
	v_lshrrev_b32_e32 v7, s36, v7
	v_add3_u32 v0, v3, v0, v1
	v_mul_hi_u32 v3, s38, v7
	v_add_u32_e32 v3, v7, v3
	v_lshrrev_b32_e32 v3, s39, v3
	s_add_i32 s51, s51, 4
	v_add3_u32 v1, v5, v2, v8
	v_mul_lo_u32 v2, v7, s22
	v_mul_lo_u32 v5, v3, s37
	s_add_u32 s44, s44, 32
	v_sub_u32_e32 v2, v4, v2
	v_sub_u32_e32 v5, v7, v5
	s_addc_u32 s45, s45, 0
	v_mul_lo_u32 v4, v2, s12
	v_mul_lo_u32 v2, v2, s13
	;; [unrolled: 1-line block ×4, first 2 shown]
	s_cmp_eq_u32 s50, s51
	v_add3_u32 v2, v2, v1, v5
	v_add3_u32 v0, v4, v0, v7
	s_cbranch_scc0 .LBB7_145
; %bb.146:
	v_mov_b32_e32 v1, v2
	s_branch .LBB7_149
.LBB7_147:
                                        ; implicit-def: $vgpr2
                                        ; implicit-def: $vgpr0
	s_branch .LBB7_154
.LBB7_148:
	s_mov_b32 s51, s50
	v_pk_mov_b32 v[0:1], s[50:51], s[50:51] op_sel:[0,1]
                                        ; implicit-def: $vgpr2
	v_mov_b32_e32 v3, v6
.LBB7_149:
	s_and_b32 s12, s58, 3
	s_cmp_eq_u32 s12, 0
	s_cbranch_scc1 .LBB7_153
; %bb.150:
	s_lshl_b32 s8, s50, 3
	s_add_u32 s8, s8, s4
	s_addc_u32 s9, s5, 0
	s_add_u32 s8, s8, 0xc4
	s_addc_u32 s9, s9, 0
	s_mul_i32 s10, s50, 12
	s_add_u32 s10, s4, s10
	s_addc_u32 s11, s5, 0
.LBB7_151:                              ; =>This Inner Loop Header: Depth=1
	s_load_dwordx2 s[14:15], s[10:11], 0x4
	s_load_dword s13, s[10:11], 0xc
	s_load_dwordx2 s[16:17], s[8:9], 0x0
	v_mov_b32_e32 v2, v1
	s_add_u32 s10, s10, 12
	s_waitcnt lgkmcnt(0)
	v_mul_hi_u32 v1, s15, v3
	v_add_u32_e32 v1, v3, v1
	v_lshrrev_b32_e32 v1, s13, v1
	s_addc_u32 s11, s11, 0
	v_mul_lo_u32 v4, v1, s14
	s_add_u32 s8, s8, 8
	v_sub_u32_e32 v7, v3, v4
	v_mov_b32_e32 v3, v1
	s_addc_u32 s9, s9, 0
	s_add_i32 s12, s12, -1
	v_mad_u64_u32 v[4:5], s[14:15], v7, s17, v[2:3]
	v_mad_u64_u32 v[0:1], s[14:15], v7, s16, v[0:1]
	s_cmp_lg_u32 s12, 0
	v_mov_b32_e32 v1, v4
	s_cbranch_scc1 .LBB7_151
; %bb.152:
	v_mov_b32_e32 v2, v1
.LBB7_153:
	s_cbranch_execnz .LBB7_156
.LBB7_154:
	s_waitcnt lgkmcnt(0)
	v_mul_hi_u32 v0, s29, v6
	v_add_u32_e32 v0, v6, v0
	v_lshrrev_b32_e32 v1, s30, v0
	v_mul_lo_u32 v0, v1, s28
	v_sub_u32_e32 v0, v6, v0
	v_mul_lo_u32 v2, v0, s25
	s_andn2_b64 vcc, exec, s[42:43]
	v_mul_lo_u32 v0, v0, s24
	s_cbranch_vccnz .LBB7_156
; %bb.155:
	v_mul_hi_u32 v3, s40, v1
	v_add_u32_e32 v3, v1, v3
	v_lshrrev_b32_e32 v3, s41, v3
	v_mul_lo_u32 v3, v3, s31
	v_sub_u32_e32 v3, v1, v3
	v_mad_u64_u32 v[0:1], s[8:9], v3, s26, v[0:1]
	v_mad_u64_u32 v[2:3], s[8:9], v3, s27, v[2:3]
.LBB7_156:
	s_waitcnt lgkmcnt(0)
	global_load_dwordx2 v[2:3], v2, s[2:3]
	s_mov_b32 s2, 0
	s_mov_b32 s3, 0x40200000
                                        ; implicit-def: $vgpr4_vgpr5
	s_waitcnt vmcnt(0)
	v_cmp_le_f64_e64 s[2:3], |v[2:3]|, s[2:3]
	s_and_saveexec_b64 s[8:9], s[2:3]
	s_xor_b64 s[2:3], exec, s[8:9]
	s_cbranch_execz .LBB7_158
; %bb.157:
	s_mov_b32 s8, 0x2134d0ef
	v_fma_f64 v[4:5], |v[2:3]|, 0.5, -2.0
	v_mov_b32_e32 v6, 0x977da589
	v_mov_b32_e32 v7, 0x3c833362
	s_mov_b32 s9, 0xbc545cb7
	v_fmac_f64_e32 v[6:7], s[8:9], v[4:5]
	v_mov_b32_e32 v8, 0x2134d0ef
	v_mov_b32_e32 v9, 0x3c545cb7
	s_mov_b32 s8, 0x721ebbb4
	v_fmac_f64_e32 v[8:9], v[4:5], v[6:7]
	s_mov_b32 s9, 0xbcb184eb
	v_add_f64 v[8:9], v[8:9], s[8:9]
	s_mov_b32 s8, 0x93f65eba
	v_fma_f64 v[6:7], v[4:5], v[8:9], -v[6:7]
	s_mov_b32 s9, 0x3cdee6d8
	v_add_f64 v[6:7], v[6:7], s[8:9]
	s_mov_b32 s8, 0xc297fbeb
	v_fma_f64 v[8:9], v[4:5], v[6:7], -v[8:9]
	;; [unrolled: 4-line block ×27, first 2 shown]
	s_mov_b32 s9, 0x3fe5a84e
	v_add_f64 v[4:5], v[4:5], s[8:9]
	s_mov_b32 s8, 0x652b82fe
	s_mov_b32 s9, 0x3ff71547
	v_mul_f64 v[8:9], |v[2:3]|, s[8:9]
	s_mov_b32 s8, 0xfefa39ef
	v_rndne_f64_e32 v[8:9], v[8:9]
	s_mov_b32 s9, 0xbfe62e42
	v_fma_f64 v[10:11], v[8:9], s[8:9], |v[2:3]|
	s_mov_b32 s8, 0x3b39803f
	s_mov_b32 s9, 0xbc7abc9e
	v_fmac_f64_e32 v[10:11], s[8:9], v[8:9]
	s_mov_b32 s8, 0x6a5dcb37
	v_mov_b32_e32 v12, 0xfca7ab0c
	v_mov_b32_e32 v13, 0x3e928af3
	s_mov_b32 s9, 0x3e5ade15
	v_fmac_f64_e32 v[12:13], s[8:9], v[10:11]
	v_mov_b32_e32 v14, 0x623fde64
	v_mov_b32_e32 v15, 0x3ec71dee
	v_fmac_f64_e32 v[14:15], v[10:11], v[12:13]
	v_mov_b32_e32 v12, 0x7c89e6b0
	v_mov_b32_e32 v13, 0x3efa0199
	;; [unrolled: 3-line block ×8, first 2 shown]
	v_fmac_f64_e32 v[12:13], v[10:11], v[14:15]
	v_fma_f64 v[12:13], v[10:11], v[12:13], 1.0
	s_mov_b32 s8, 0
	v_fma_f64 v[10:11], v[10:11], v[12:13], 1.0
	v_cvt_i32_f64_e32 v1, v[8:9]
	s_mov_b32 s9, 0x40900000
	v_ldexp_f64 v[8:9], v[10:11], v1
	v_mov_b32_e32 v1, 0x7ff00000
	v_cmp_ngt_f64_e64 vcc, |v[2:3]|, s[8:9]
	v_add_f64 v[4:5], v[4:5], -v[6:7]
	v_cndmask_b32_e32 v3, v1, v9, vcc
	v_cndmask_b32_e32 v2, 0, v8, vcc
	v_mul_f64 v[4:5], v[4:5], 0.5
	v_mul_f64 v[4:5], v[2:3], v[4:5]
                                        ; implicit-def: $vgpr2_vgpr3
.LBB7_158:
	s_andn2_saveexec_b64 s[2:3], s[2:3]
	s_cbranch_execz .LBB7_160
; %bb.159:
	s_mov_b32 s8, 0
	v_and_b32_e32 v5, 0x7fffffff, v3
	v_mov_b32_e32 v4, v2
	s_mov_b32 s9, 0x40400000
	v_div_scale_f64 v[6:7], s[10:11], v[4:5], v[4:5], s[8:9]
	v_rcp_f64_e32 v[8:9], v[6:7]
	v_div_scale_f64 v[4:5], vcc, s[8:9], v[4:5], s[8:9]
	v_mov_b32_e32 v12, 0xfca7ab0c
	v_fma_f64 v[10:11], -v[6:7], v[8:9], 1.0
	v_fmac_f64_e32 v[8:9], v[8:9], v[10:11]
	v_fma_f64 v[10:11], -v[6:7], v[8:9], 1.0
	v_fmac_f64_e32 v[8:9], v[8:9], v[10:11]
	v_mul_f64 v[10:11], v[4:5], v[8:9]
	v_fma_f64 v[4:5], -v[6:7], v[10:11], v[4:5]
	v_div_fmas_f64 v[4:5], v[4:5], v[8:9], v[10:11]
	v_div_fixup_f64 v[4:5], v[4:5], |v[2:3]|, s[8:9]
	s_mov_b32 s8, 0x54ca8b19
	v_add_f64 v[4:5], v[4:5], -2.0
	v_mov_b32_e32 v6, 0x66119130
	v_mov_b32_e32 v7, 0xbc5646da
	s_mov_b32 s9, 0xbc60adb7
	v_fmac_f64_e32 v[6:7], s[8:9], v[4:5]
	v_mov_b32_e32 v8, 0x54ca8b19
	v_mov_b32_e32 v9, 0x3c60adb7
	s_mov_b32 s8, 0x12d98421
	v_fmac_f64_e32 v[8:9], v[4:5], v[6:7]
	s_mov_b32 s9, 0x3c89be18
	v_add_f64 v[8:9], v[8:9], s[8:9]
	s_mov_b32 s8, 0x76041cd
	v_fma_f64 v[6:7], v[4:5], v[8:9], -v[6:7]
	s_mov_b32 s9, 0x3c83f3dd
	v_add_f64 v[6:7], v[6:7], s[8:9]
	s_mov_b32 s8, 0xabd21fe4
	v_fma_f64 v[8:9], v[4:5], v[6:7], -v[8:9]
	s_mov_b32 s9, 0xbcb4600b
	v_add_f64 v[8:9], v[8:9], s[8:9]
	s_mov_b32 s8, 0xd908de38
	v_fma_f64 v[6:7], v[4:5], v[8:9], -v[6:7]
	s_mov_b32 s9, 0xbcb8aee7
	v_add_f64 v[6:7], v[6:7], s[8:9]
	s_mov_b32 s8, 0xa3eafb1f
	v_fma_f64 v[8:9], v[4:5], v[6:7], -v[8:9]
	s_mov_b32 s9, 0x3cdfee7d
	v_add_f64 v[8:9], v[8:9], s[8:9]
	s_mov_b32 s8, 0x9094e6d7
	v_fma_f64 v[6:7], v[4:5], v[8:9], -v[6:7]
	s_mov_b32 s9, 0x3cf12a91
	v_add_f64 v[6:7], v[6:7], s[8:9]
	s_mov_b32 s8, 0x7e65629a
	v_fma_f64 v[8:9], v[4:5], v[6:7], -v[8:9]
	s_mov_b32 s9, 0xbd0583fe
	v_add_f64 v[8:9], v[8:9], s[8:9]
	s_mov_b32 s8, 0xcf68bb32
	v_fma_f64 v[6:7], v[4:5], v[8:9], -v[6:7]
	s_mov_b32 s9, 0xbd275d99
	v_add_f64 v[6:7], v[6:7], s[8:9]
	s_mov_b32 s8, 0xd5fc545
	v_fma_f64 v[8:9], v[4:5], v[6:7], -v[8:9]
	s_mov_b32 s9, 0x3d1156ff
	v_add_f64 v[8:9], v[8:9], s[8:9]
	s_mov_b32 s8, 0x6b83c073
	v_fma_f64 v[6:7], v[4:5], v[8:9], -v[6:7]
	s_mov_b32 s9, 0x3d5b1c8c
	v_add_f64 v[6:7], v[6:7], s[8:9]
	s_mov_b32 s8, 0xfa268cec
	v_fma_f64 v[8:9], v[4:5], v[6:7], -v[8:9]
	s_mov_b32 s9, 0x3d694347
	v_add_f64 v[8:9], v[8:9], s[8:9]
	s_mov_b32 s8, 0x3178d66
	v_fma_f64 v[6:7], v[4:5], v[8:9], -v[6:7]
	s_mov_b32 s9, 0xbd7f9043
	v_add_f64 v[6:7], v[6:7], s[8:9]
	s_mov_b32 s8, 0x357e7bf2
	v_fma_f64 v[8:9], v[4:5], v[6:7], -v[8:9]
	s_mov_b32 s9, 0xbdad0fd7
	v_add_f64 v[8:9], v[8:9], s[8:9]
	s_mov_b32 s8, 0x8397425
	v_fma_f64 v[6:7], v[4:5], v[8:9], -v[6:7]
	s_mov_b32 s9, 0xbdc1511d
	v_add_f64 v[6:7], v[6:7], s[8:9]
	s_mov_b32 s8, 0xabe8004f
	v_fma_f64 v[8:9], v[4:5], v[6:7], -v[8:9]
	s_mov_b32 s9, 0x3daa24fe
	v_add_f64 v[8:9], v[8:9], s[8:9]
	s_mov_b32 s8, 0xc0f46f75
	v_fma_f64 v[6:7], v[4:5], v[8:9], -v[6:7]
	s_mov_b32 s9, 0x3e00f9cc
	v_add_f64 v[6:7], v[6:7], s[8:9]
	s_mov_b32 s8, 0xa9225b87
	v_fma_f64 v[8:9], v[4:5], v[6:7], -v[8:9]
	s_mov_b32 s9, 0x3e2d2c64
	v_add_f64 v[8:9], v[8:9], s[8:9]
	s_mov_b32 s8, 0x80d6d56d
	v_fma_f64 v[6:7], v[4:5], v[8:9], -v[6:7]
	s_mov_b32 s9, 0x3e585692
	v_add_f64 v[6:7], v[6:7], s[8:9]
	s_mov_b32 s8, 0xd9cd616e
	v_fma_f64 v[8:9], v[4:5], v[6:7], -v[8:9]
	s_mov_b32 s9, 0x3e8b8007
	v_add_f64 v[8:9], v[8:9], s[8:9]
	s_mov_b32 s8, 0xc101c586
	v_fma_f64 v[6:7], v[4:5], v[8:9], -v[6:7]
	s_mov_b32 s9, 0x3ec8412b
	v_add_f64 v[6:7], v[6:7], s[8:9]
	s_mov_b32 s8, 0x78999e52
	v_fma_f64 v[8:9], v[4:5], v[6:7], -v[8:9]
	s_mov_b32 s9, 0x3f120fa3
	v_add_f64 v[8:9], v[8:9], s[8:9]
	s_mov_b32 s8, 0xa2e59049
	v_fma_f64 v[6:7], v[4:5], v[8:9], -v[6:7]
	s_mov_b32 s9, 0x3f6b998c
	v_add_f64 v[6:7], v[6:7], s[8:9]
	s_mov_b32 s8, 0xaca809cb
	v_fma_f64 v[4:5], v[4:5], v[6:7], -v[8:9]
	s_mov_b32 s9, 0x3fe9be62
	v_add_f64 v[4:5], v[4:5], s[8:9]
	s_mov_b32 s8, 0x652b82fe
	s_mov_b32 s9, 0x3ff71547
	v_mul_f64 v[6:7], |v[2:3]|, s[8:9]
	s_mov_b32 s8, 0xfefa39ef
	v_rndne_f64_e32 v[6:7], v[6:7]
	s_mov_b32 s9, 0xbfe62e42
	v_fma_f64 v[10:11], v[6:7], s[8:9], |v[2:3]|
	s_mov_b32 s8, 0x3b39803f
	s_mov_b32 s9, 0xbc7abc9e
	v_fmac_f64_e32 v[10:11], s[8:9], v[6:7]
	s_mov_b32 s8, 0x6a5dcb37
	v_mov_b32_e32 v13, 0x3e928af3
	s_mov_b32 s9, 0x3e5ade15
	v_fmac_f64_e32 v[12:13], s[8:9], v[10:11]
	v_mov_b32_e32 v14, 0x623fde64
	v_mov_b32_e32 v15, 0x3ec71dee
	v_fmac_f64_e32 v[14:15], v[10:11], v[12:13]
	v_mov_b32_e32 v12, 0x7c89e6b0
	v_mov_b32_e32 v13, 0x3efa0199
	;; [unrolled: 3-line block ×8, first 2 shown]
	v_fmac_f64_e32 v[12:13], v[10:11], v[14:15]
	s_mov_b32 s8, 0
	v_fma_f64 v[12:13], v[10:11], v[12:13], 1.0
	s_mov_b32 s9, 0x40900000
	v_fma_f64 v[10:11], v[10:11], v[12:13], 1.0
	v_cvt_i32_f64_e32 v1, v[6:7]
	v_cmp_ngt_f64_e64 vcc, |v[2:3]|, s[8:9]
	s_mov_b32 s8, 0
	v_ldexp_f64 v[6:7], v[10:11], v1
	v_mov_b32_e32 v1, 0x7ff00000
	s_brev_b32 s9, 8
	v_cndmask_b32_e32 v7, v1, v7, vcc
	v_cndmask_b32_e32 v6, 0, v6, vcc
	v_cmp_lt_f64_e64 vcc, |v[2:3]|, s[8:9]
	v_cndmask_b32_e64 v1, 0, 1, vcc
	v_lshlrev_b32_e32 v1, 8, v1
	v_ldexp_f64 v[2:3], |v[2:3]|, v1
	v_rsq_f64_e32 v[10:11], v[2:3]
	v_add_f64 v[4:5], v[4:5], -v[8:9]
	v_mul_f64 v[4:5], v[4:5], 0.5
	v_mul_f64 v[4:5], v[6:7], v[4:5]
	v_mul_f64 v[6:7], v[2:3], v[10:11]
	v_mul_f64 v[8:9], v[10:11], 0.5
	v_fma_f64 v[10:11], -v[8:9], v[6:7], 0.5
	v_fmac_f64_e32 v[6:7], v[6:7], v[10:11]
	v_fma_f64 v[12:13], -v[6:7], v[6:7], v[2:3]
	v_fmac_f64_e32 v[8:9], v[8:9], v[10:11]
	v_fmac_f64_e32 v[6:7], v[12:13], v[8:9]
	v_fma_f64 v[10:11], -v[6:7], v[6:7], v[2:3]
	v_mov_b32_e32 v1, 0xffffff80
	v_fmac_f64_e32 v[6:7], v[10:11], v[8:9]
	v_cndmask_b32_e32 v1, 0, v1, vcc
	v_ldexp_f64 v[6:7], v[6:7], v1
	v_mov_b32_e32 v1, 0x260
	v_cmp_class_f64_e32 vcc, v[2:3], v1
	v_cndmask_b32_e32 v3, v7, v3, vcc
	v_cndmask_b32_e32 v2, v6, v2, vcc
	v_div_scale_f64 v[6:7], s[8:9], v[2:3], v[2:3], v[4:5]
	v_rcp_f64_e32 v[8:9], v[6:7]
	v_fma_f64 v[10:11], -v[6:7], v[8:9], 1.0
	v_fmac_f64_e32 v[8:9], v[8:9], v[10:11]
	v_fma_f64 v[10:11], -v[6:7], v[8:9], 1.0
	v_fmac_f64_e32 v[8:9], v[8:9], v[10:11]
	v_div_scale_f64 v[10:11], vcc, v[4:5], v[2:3], v[4:5]
	v_mul_f64 v[12:13], v[10:11], v[8:9]
	v_fma_f64 v[6:7], -v[6:7], v[12:13], v[10:11]
	s_nop 1
	v_div_fmas_f64 v[6:7], v[6:7], v[8:9], v[12:13]
	v_div_fixup_f64 v[4:5], v[6:7], v[2:3], v[4:5]
.LBB7_160:
	s_or_b64 exec, exec, s[2:3]
	global_store_dwordx2 v0, v[4:5], s[0:1]
	s_or_b64 exec, exec, s[48:49]
                                        ; implicit-def: $vgpr9
                                        ; implicit-def: $vgpr6
	s_andn2_saveexec_b64 s[0:1], s[34:35]
	s_cbranch_execz .LBB7_127
	s_branch .LBB7_9
	.section	.rodata,"a",@progbits
	.p2align	6, 0x0
	.amdhsa_kernel _ZN2at6native32elementwise_kernel_manual_unrollILi128ELi4EZNS0_22gpu_kernel_impl_nocastIZZZNS0_12_GLOBAL__N_130modified_bessel_i0_kernel_cudaERNS_18TensorIteratorBaseEENKUlvE_clEvENKUlvE_clEvEUldE_EEvS5_RKT_EUlibE_EEviT1_
		.amdhsa_group_segment_fixed_size 0
		.amdhsa_private_segment_fixed_size 0
		.amdhsa_kernarg_size 360
		.amdhsa_user_sgpr_count 6
		.amdhsa_user_sgpr_private_segment_buffer 1
		.amdhsa_user_sgpr_dispatch_ptr 0
		.amdhsa_user_sgpr_queue_ptr 0
		.amdhsa_user_sgpr_kernarg_segment_ptr 1
		.amdhsa_user_sgpr_dispatch_id 0
		.amdhsa_user_sgpr_flat_scratch_init 0
		.amdhsa_user_sgpr_kernarg_preload_length 0
		.amdhsa_user_sgpr_kernarg_preload_offset 0
		.amdhsa_user_sgpr_private_segment_size 0
		.amdhsa_uses_dynamic_stack 0
		.amdhsa_system_sgpr_private_segment_wavefront_offset 0
		.amdhsa_system_sgpr_workgroup_id_x 1
		.amdhsa_system_sgpr_workgroup_id_y 0
		.amdhsa_system_sgpr_workgroup_id_z 0
		.amdhsa_system_sgpr_workgroup_info 0
		.amdhsa_system_vgpr_workitem_id 0
		.amdhsa_next_free_vgpr 28
		.amdhsa_next_free_sgpr 60
		.amdhsa_accum_offset 28
		.amdhsa_reserve_vcc 1
		.amdhsa_reserve_flat_scratch 0
		.amdhsa_float_round_mode_32 0
		.amdhsa_float_round_mode_16_64 0
		.amdhsa_float_denorm_mode_32 3
		.amdhsa_float_denorm_mode_16_64 3
		.amdhsa_dx10_clamp 1
		.amdhsa_ieee_mode 1
		.amdhsa_fp16_overflow 0
		.amdhsa_tg_split 0
		.amdhsa_exception_fp_ieee_invalid_op 0
		.amdhsa_exception_fp_denorm_src 0
		.amdhsa_exception_fp_ieee_div_zero 0
		.amdhsa_exception_fp_ieee_overflow 0
		.amdhsa_exception_fp_ieee_underflow 0
		.amdhsa_exception_fp_ieee_inexact 0
		.amdhsa_exception_int_div_zero 0
	.end_amdhsa_kernel
	.section	.text._ZN2at6native32elementwise_kernel_manual_unrollILi128ELi4EZNS0_22gpu_kernel_impl_nocastIZZZNS0_12_GLOBAL__N_130modified_bessel_i0_kernel_cudaERNS_18TensorIteratorBaseEENKUlvE_clEvENKUlvE_clEvEUldE_EEvS5_RKT_EUlibE_EEviT1_,"axG",@progbits,_ZN2at6native32elementwise_kernel_manual_unrollILi128ELi4EZNS0_22gpu_kernel_impl_nocastIZZZNS0_12_GLOBAL__N_130modified_bessel_i0_kernel_cudaERNS_18TensorIteratorBaseEENKUlvE_clEvENKUlvE_clEvEUldE_EEvS5_RKT_EUlibE_EEviT1_,comdat
.Lfunc_end7:
	.size	_ZN2at6native32elementwise_kernel_manual_unrollILi128ELi4EZNS0_22gpu_kernel_impl_nocastIZZZNS0_12_GLOBAL__N_130modified_bessel_i0_kernel_cudaERNS_18TensorIteratorBaseEENKUlvE_clEvENKUlvE_clEvEUldE_EEvS5_RKT_EUlibE_EEviT1_, .Lfunc_end7-_ZN2at6native32elementwise_kernel_manual_unrollILi128ELi4EZNS0_22gpu_kernel_impl_nocastIZZZNS0_12_GLOBAL__N_130modified_bessel_i0_kernel_cudaERNS_18TensorIteratorBaseEENKUlvE_clEvENKUlvE_clEvEUldE_EEvS5_RKT_EUlibE_EEviT1_
                                        ; -- End function
	.section	.AMDGPU.csdata,"",@progbits
; Kernel info:
; codeLenInByte = 28272
; NumSgprs: 64
; NumVgprs: 28
; NumAgprs: 0
; TotalNumVgprs: 28
; ScratchSize: 0
; MemoryBound: 0
; FloatMode: 240
; IeeeMode: 1
; LDSByteSize: 0 bytes/workgroup (compile time only)
; SGPRBlocks: 7
; VGPRBlocks: 3
; NumSGPRsForWavesPerEU: 64
; NumVGPRsForWavesPerEU: 28
; AccumOffset: 28
; Occupancy: 8
; WaveLimiterHint : 1
; COMPUTE_PGM_RSRC2:SCRATCH_EN: 0
; COMPUTE_PGM_RSRC2:USER_SGPR: 6
; COMPUTE_PGM_RSRC2:TRAP_HANDLER: 0
; COMPUTE_PGM_RSRC2:TGID_X_EN: 1
; COMPUTE_PGM_RSRC2:TGID_Y_EN: 0
; COMPUTE_PGM_RSRC2:TGID_Z_EN: 0
; COMPUTE_PGM_RSRC2:TIDIG_COMP_CNT: 0
; COMPUTE_PGM_RSRC3_GFX90A:ACCUM_OFFSET: 6
; COMPUTE_PGM_RSRC3_GFX90A:TG_SPLIT: 0
	.section	.text._ZN2at6native32elementwise_kernel_manual_unrollILi128ELi4EZNS0_15gpu_kernel_implIZZZNS0_12_GLOBAL__N_130modified_bessel_i0_kernel_cudaERNS_18TensorIteratorBaseEENKUlvE_clEvENKUlvE_clEvEUldE_EEvS5_RKT_EUlibE_EEviT1_,"axG",@progbits,_ZN2at6native32elementwise_kernel_manual_unrollILi128ELi4EZNS0_15gpu_kernel_implIZZZNS0_12_GLOBAL__N_130modified_bessel_i0_kernel_cudaERNS_18TensorIteratorBaseEENKUlvE_clEvENKUlvE_clEvEUldE_EEvS5_RKT_EUlibE_EEviT1_,comdat
	.globl	_ZN2at6native32elementwise_kernel_manual_unrollILi128ELi4EZNS0_15gpu_kernel_implIZZZNS0_12_GLOBAL__N_130modified_bessel_i0_kernel_cudaERNS_18TensorIteratorBaseEENKUlvE_clEvENKUlvE_clEvEUldE_EEvS5_RKT_EUlibE_EEviT1_ ; -- Begin function _ZN2at6native32elementwise_kernel_manual_unrollILi128ELi4EZNS0_15gpu_kernel_implIZZZNS0_12_GLOBAL__N_130modified_bessel_i0_kernel_cudaERNS_18TensorIteratorBaseEENKUlvE_clEvENKUlvE_clEvEUldE_EEvS5_RKT_EUlibE_EEviT1_
	.p2align	8
	.type	_ZN2at6native32elementwise_kernel_manual_unrollILi128ELi4EZNS0_15gpu_kernel_implIZZZNS0_12_GLOBAL__N_130modified_bessel_i0_kernel_cudaERNS_18TensorIteratorBaseEENKUlvE_clEvENKUlvE_clEvEUldE_EEvS5_RKT_EUlibE_EEviT1_,@function
_ZN2at6native32elementwise_kernel_manual_unrollILi128ELi4EZNS0_15gpu_kernel_implIZZZNS0_12_GLOBAL__N_130modified_bessel_i0_kernel_cudaERNS_18TensorIteratorBaseEENKUlvE_clEvENKUlvE_clEvEUldE_EEvS5_RKT_EUlibE_EEviT1_: ; @_ZN2at6native32elementwise_kernel_manual_unrollILi128ELi4EZNS0_15gpu_kernel_implIZZZNS0_12_GLOBAL__N_130modified_bessel_i0_kernel_cudaERNS_18TensorIteratorBaseEENKUlvE_clEvENKUlvE_clEvEUldE_EEvS5_RKT_EUlibE_EEviT1_
; %bb.0:
	v_mov_b32_e32 v1, 0
	global_load_ushort v14, v1, s[4:5] offset:33
	s_load_dwordx4 s[8:11], s[4:5], 0x8
	s_load_dwordx2 s[2:3], s[4:5], 0x18
	s_load_dword s33, s[4:5], 0x0
	v_lshl_or_b32 v10, s6, 9, v0
	v_or_b32_e32 v0, 0x180, v10
	s_mov_b64 s[12:13], 0
	s_mov_b64 s[6:7], 0
	s_waitcnt lgkmcnt(0)
	v_cmp_le_i32_e32 vcc, s33, v0
	s_waitcnt vmcnt(0)
	v_lshrrev_b16_e32 v11, 8, v14
	s_and_saveexec_b64 s[0:1], vcc
	s_xor_b64 s[4:5], exec, s[0:1]
	s_cbranch_execz .LBB8_1043
; %bb.1:
	v_cmp_gt_i32_e32 vcc, s33, v10
	s_mov_b64 s[18:19], -1
	s_mov_b64 s[20:21], 0
	s_mov_b64 s[14:15], 0
	s_and_saveexec_b64 s[16:17], vcc
	s_cbranch_execz .LBB8_256
; %bb.2:
	v_mul_lo_u32 v0, v10, s3
	v_ashrrev_i32_e32 v1, 31, v0
	v_mov_b32_e32 v2, s11
	v_add_co_u32_e32 v0, vcc, s10, v0
	v_addc_co_u32_e32 v1, vcc, v2, v1, vcc
	v_cmp_gt_i16_e32 vcc, 11, v11
	s_cbranch_vccnz .LBB8_9
; %bb.3:
	v_cmp_lt_i16_e32 vcc, 25, v11
	s_cbranch_vccz .LBB8_22
; %bb.4:
	v_cmp_lt_i16_e32 vcc, 28, v11
	s_cbranch_vccz .LBB8_26
	;; [unrolled: 3-line block ×4, first 2 shown]
; %bb.7:
	v_cmp_eq_u16_e32 vcc, 46, v11
	s_cbranch_vccz .LBB8_32
; %bb.8:
	global_load_dword v2, v[0:1], off
	s_mov_b64 s[0:1], -1
	s_waitcnt vmcnt(0)
	v_lshlrev_b32_e32 v2, 16, v2
	v_cvt_f64_f32_e32 v[2:3], v2
	s_branch .LBB8_34
.LBB8_9:
                                        ; implicit-def: $vgpr2_vgpr3
	s_mov_b64 s[0:1], 0
	s_cbranch_execnz .LBB8_207
.LBB8_10:
	s_andn2_b64 vcc, exec, s[0:1]
	s_cbranch_vccnz .LBB8_254
.LBB8_11:
	s_mov_b32 s0, 0
	s_mov_b32 s1, 0x40200000
	s_waitcnt vmcnt(0)
	v_cmp_le_f64_e64 s[0:1], |v[2:3]|, s[0:1]
                                        ; implicit-def: $vgpr0_vgpr1
	s_and_saveexec_b64 s[6:7], s[0:1]
	s_xor_b64 s[0:1], exec, s[6:7]
	s_cbranch_execz .LBB8_13
; %bb.12:
	s_mov_b32 s6, 0x2134d0ef
	v_fma_f64 v[0:1], |v[2:3]|, 0.5, -2.0
	v_mov_b32_e32 v4, 0x977da589
	v_mov_b32_e32 v5, 0x3c833362
	s_mov_b32 s7, 0xbc545cb7
	v_fmac_f64_e32 v[4:5], s[6:7], v[0:1]
	v_mov_b32_e32 v6, 0x2134d0ef
	v_mov_b32_e32 v7, 0x3c545cb7
	s_mov_b32 s6, 0x721ebbb4
	v_fmac_f64_e32 v[6:7], v[0:1], v[4:5]
	s_mov_b32 s7, 0xbcb184eb
	v_add_f64 v[6:7], v[6:7], s[6:7]
	s_mov_b32 s6, 0x93f65eba
	v_fma_f64 v[4:5], v[0:1], v[6:7], -v[4:5]
	s_mov_b32 s7, 0x3cdee6d8
	v_add_f64 v[4:5], v[4:5], s[6:7]
	s_mov_b32 s6, 0xc297fbeb
	v_fma_f64 v[6:7], v[0:1], v[4:5], -v[6:7]
	;; [unrolled: 4-line block ×27, first 2 shown]
	s_mov_b32 s7, 0x3fe5a84e
	v_add_f64 v[0:1], v[0:1], s[6:7]
	s_mov_b32 s6, 0x652b82fe
	s_mov_b32 s7, 0x3ff71547
	v_mul_f64 v[6:7], |v[2:3]|, s[6:7]
	s_mov_b32 s6, 0xfefa39ef
	v_rndne_f64_e32 v[6:7], v[6:7]
	s_mov_b32 s7, 0xbfe62e42
	v_fma_f64 v[8:9], v[6:7], s[6:7], |v[2:3]|
	s_mov_b32 s6, 0x3b39803f
	s_mov_b32 s7, 0xbc7abc9e
	v_fmac_f64_e32 v[8:9], s[6:7], v[6:7]
	s_mov_b32 s6, 0x6a5dcb37
	v_mov_b32_e32 v12, 0xfca7ab0c
	v_mov_b32_e32 v13, 0x3e928af3
	s_mov_b32 s7, 0x3e5ade15
	v_fmac_f64_e32 v[12:13], s[6:7], v[8:9]
	v_mov_b32_e32 v16, 0x623fde64
	v_mov_b32_e32 v17, 0x3ec71dee
	v_fmac_f64_e32 v[16:17], v[8:9], v[12:13]
	v_mov_b32_e32 v12, 0x7c89e6b0
	v_mov_b32_e32 v13, 0x3efa0199
	;; [unrolled: 3-line block ×8, first 2 shown]
	v_fmac_f64_e32 v[12:13], v[8:9], v[16:17]
	v_fma_f64 v[12:13], v[8:9], v[12:13], 1.0
	s_mov_b32 s6, 0
	v_fma_f64 v[8:9], v[8:9], v[12:13], 1.0
	v_cvt_i32_f64_e32 v6, v[6:7]
	s_mov_b32 s7, 0x40900000
	v_ldexp_f64 v[6:7], v[8:9], v6
	v_mov_b32_e32 v8, 0x7ff00000
	v_cmp_ngt_f64_e64 vcc, |v[2:3]|, s[6:7]
	v_add_f64 v[0:1], v[0:1], -v[4:5]
	v_cndmask_b32_e32 v3, v8, v7, vcc
	v_cndmask_b32_e32 v2, 0, v6, vcc
	v_mul_f64 v[0:1], v[0:1], 0.5
	v_mul_f64 v[0:1], v[2:3], v[0:1]
                                        ; implicit-def: $vgpr2_vgpr3
.LBB8_13:
	s_andn2_saveexec_b64 s[0:1], s[0:1]
	s_cbranch_execz .LBB8_15
; %bb.14:
	s_mov_b32 s6, 0
	v_and_b32_e32 v1, 0x7fffffff, v3
	v_mov_b32_e32 v0, v2
	s_mov_b32 s7, 0x40400000
	v_div_scale_f64 v[4:5], s[18:19], v[0:1], v[0:1], s[6:7]
	v_rcp_f64_e32 v[6:7], v[4:5]
	v_div_scale_f64 v[0:1], vcc, s[6:7], v[0:1], s[6:7]
	v_mov_b32_e32 v12, 0xfca7ab0c
	v_fma_f64 v[8:9], -v[4:5], v[6:7], 1.0
	v_fmac_f64_e32 v[6:7], v[6:7], v[8:9]
	v_fma_f64 v[8:9], -v[4:5], v[6:7], 1.0
	v_fmac_f64_e32 v[6:7], v[6:7], v[8:9]
	v_mul_f64 v[8:9], v[0:1], v[6:7]
	v_fma_f64 v[0:1], -v[4:5], v[8:9], v[0:1]
	v_div_fmas_f64 v[0:1], v[0:1], v[6:7], v[8:9]
	v_div_fixup_f64 v[0:1], v[0:1], |v[2:3]|, s[6:7]
	s_mov_b32 s6, 0x54ca8b19
	v_add_f64 v[0:1], v[0:1], -2.0
	v_mov_b32_e32 v4, 0x66119130
	v_mov_b32_e32 v5, 0xbc5646da
	s_mov_b32 s7, 0xbc60adb7
	v_fmac_f64_e32 v[4:5], s[6:7], v[0:1]
	v_mov_b32_e32 v6, 0x54ca8b19
	v_mov_b32_e32 v7, 0x3c60adb7
	s_mov_b32 s6, 0x12d98421
	v_fmac_f64_e32 v[6:7], v[0:1], v[4:5]
	s_mov_b32 s7, 0x3c89be18
	v_add_f64 v[6:7], v[6:7], s[6:7]
	s_mov_b32 s6, 0x76041cd
	v_fma_f64 v[4:5], v[0:1], v[6:7], -v[4:5]
	s_mov_b32 s7, 0x3c83f3dd
	v_add_f64 v[4:5], v[4:5], s[6:7]
	s_mov_b32 s6, 0xabd21fe4
	v_fma_f64 v[6:7], v[0:1], v[4:5], -v[6:7]
	;; [unrolled: 4-line block ×22, first 2 shown]
	s_mov_b32 s7, 0x3fe9be62
	v_add_f64 v[0:1], v[0:1], s[6:7]
	s_mov_b32 s6, 0x652b82fe
	s_mov_b32 s7, 0x3ff71547
	v_mul_f64 v[4:5], |v[2:3]|, s[6:7]
	s_mov_b32 s6, 0xfefa39ef
	v_rndne_f64_e32 v[4:5], v[4:5]
	s_mov_b32 s7, 0xbfe62e42
	v_fma_f64 v[8:9], v[4:5], s[6:7], |v[2:3]|
	s_mov_b32 s6, 0x3b39803f
	s_mov_b32 s7, 0xbc7abc9e
	v_fmac_f64_e32 v[8:9], s[6:7], v[4:5]
	s_mov_b32 s6, 0x6a5dcb37
	v_mov_b32_e32 v13, 0x3e928af3
	s_mov_b32 s7, 0x3e5ade15
	v_fmac_f64_e32 v[12:13], s[6:7], v[8:9]
	v_mov_b32_e32 v16, 0x623fde64
	v_mov_b32_e32 v17, 0x3ec71dee
	v_fmac_f64_e32 v[16:17], v[8:9], v[12:13]
	v_mov_b32_e32 v12, 0x7c89e6b0
	v_mov_b32_e32 v13, 0x3efa0199
	;; [unrolled: 3-line block ×8, first 2 shown]
	v_fmac_f64_e32 v[12:13], v[8:9], v[16:17]
	s_mov_b32 s6, 0
	v_fma_f64 v[12:13], v[8:9], v[12:13], 1.0
	s_mov_b32 s7, 0x40900000
	v_fma_f64 v[8:9], v[8:9], v[12:13], 1.0
	v_cvt_i32_f64_e32 v4, v[4:5]
	v_cmp_ngt_f64_e64 vcc, |v[2:3]|, s[6:7]
	s_mov_b32 s6, 0
	v_ldexp_f64 v[4:5], v[8:9], v4
	v_mov_b32_e32 v8, 0x7ff00000
	s_brev_b32 s7, 8
	v_cndmask_b32_e32 v5, v8, v5, vcc
	v_cndmask_b32_e32 v4, 0, v4, vcc
	v_cmp_lt_f64_e64 vcc, |v[2:3]|, s[6:7]
	v_cndmask_b32_e64 v8, 0, 1, vcc
	v_lshlrev_b32_e32 v8, 8, v8
	v_ldexp_f64 v[2:3], |v[2:3]|, v8
	v_rsq_f64_e32 v[8:9], v[2:3]
	v_add_f64 v[0:1], v[0:1], -v[6:7]
	v_mul_f64 v[0:1], v[0:1], 0.5
	v_mul_f64 v[0:1], v[4:5], v[0:1]
	v_mul_f64 v[4:5], v[2:3], v[8:9]
	v_mul_f64 v[6:7], v[8:9], 0.5
	v_fma_f64 v[8:9], -v[6:7], v[4:5], 0.5
	v_fmac_f64_e32 v[4:5], v[4:5], v[8:9]
	v_fma_f64 v[12:13], -v[4:5], v[4:5], v[2:3]
	v_fmac_f64_e32 v[6:7], v[6:7], v[8:9]
	v_fmac_f64_e32 v[4:5], v[12:13], v[6:7]
	v_fma_f64 v[8:9], -v[4:5], v[4:5], v[2:3]
	v_fmac_f64_e32 v[4:5], v[8:9], v[6:7]
	v_mov_b32_e32 v6, 0xffffff80
	v_cndmask_b32_e32 v6, 0, v6, vcc
	v_ldexp_f64 v[4:5], v[4:5], v6
	v_mov_b32_e32 v6, 0x260
	v_cmp_class_f64_e32 vcc, v[2:3], v6
	v_cndmask_b32_e32 v3, v5, v3, vcc
	v_cndmask_b32_e32 v2, v4, v2, vcc
	v_div_scale_f64 v[4:5], s[6:7], v[2:3], v[2:3], v[0:1]
	v_rcp_f64_e32 v[6:7], v[4:5]
	v_fma_f64 v[8:9], -v[4:5], v[6:7], 1.0
	v_fmac_f64_e32 v[6:7], v[6:7], v[8:9]
	v_fma_f64 v[8:9], -v[4:5], v[6:7], 1.0
	v_fmac_f64_e32 v[6:7], v[6:7], v[8:9]
	v_div_scale_f64 v[8:9], vcc, v[0:1], v[2:3], v[0:1]
	v_mul_f64 v[12:13], v[8:9], v[6:7]
	v_fma_f64 v[4:5], -v[4:5], v[12:13], v[8:9]
	s_nop 1
	v_div_fmas_f64 v[4:5], v[4:5], v[6:7], v[12:13]
	v_div_fixup_f64 v[0:1], v[4:5], v[2:3], v[0:1]
.LBB8_15:
	s_or_b64 exec, exec, s[0:1]
	v_mul_lo_u32 v2, v10, s2
	v_ashrrev_i32_e32 v3, 31, v2
	v_mov_b32_e32 v5, s9
	v_add_co_u32_e32 v4, vcc, s8, v2
	v_mov_b32_e32 v2, 11
	v_addc_co_u32_e32 v5, vcc, v5, v3, vcc
	v_cmp_lt_i16_sdwa s[0:1], v14, v2 src0_sel:BYTE_0 src1_sel:DWORD
	s_and_b64 vcc, exec, s[0:1]
	s_cbranch_vccnz .LBB8_23
; %bb.16:
	v_mov_b32_e32 v2, 25
	v_cmp_gt_i16_sdwa s[0:1], v14, v2 src0_sel:BYTE_0 src1_sel:DWORD
	s_and_b64 vcc, exec, s[0:1]
	s_cbranch_vccz .LBB8_27
; %bb.17:
	v_mov_b32_e32 v2, 28
	v_cmp_gt_i16_sdwa s[0:1], v14, v2 src0_sel:BYTE_0 src1_sel:DWORD
	s_and_b64 vcc, exec, s[0:1]
	s_cbranch_vccz .LBB8_29
	;; [unrolled: 5-line block ×4, first 2 shown]
; %bb.20:
	v_mov_b32_e32 v2, 46
	v_cmp_eq_u16_sdwa s[6:7], v14, v2 src0_sel:BYTE_0 src1_sel:DWORD
	s_mov_b64 s[18:19], 0
	s_mov_b64 s[0:1], -1
	s_and_b64 vcc, exec, s[6:7]
	s_mov_b64 s[6:7], 0
	s_cbranch_vccz .LBB8_38
; %bb.21:
	v_cvt_f32_f64_e32 v2, v[0:1]
	v_bfe_u32 v3, v2, 16, 1
	s_movk_i32 s0, 0x7fff
	v_add3_u32 v3, v2, v3, s0
	v_lshrrev_b32_e32 v3, 16, v3
	v_mov_b32_e32 v6, 0x7fc0
	v_cmp_o_f32_e32 vcc, v2, v2
	v_cndmask_b32_e32 v2, v6, v3, vcc
	global_store_dword v[4:5], v2, off
	s_mov_b64 s[6:7], -1
	s_mov_b64 s[0:1], 0
	s_branch .LBB8_38
.LBB8_22:
	s_mov_b64 s[0:1], 0
                                        ; implicit-def: $vgpr2_vgpr3
	s_cbranch_execnz .LBB8_172
	s_branch .LBB8_206
.LBB8_23:
	s_mov_b64 s[0:1], 0
	s_mov_b64 s[6:7], 0
	s_cbranch_execnz .LBB8_107
.LBB8_24:
	s_andn2_b64 vcc, exec, s[6:7]
	s_cbranch_vccnz .LBB8_145
.LBB8_25:
	v_add_u32_e32 v10, 0x80, v10
	s_mov_b64 s[18:19], -1
	s_branch .LBB8_255
.LBB8_26:
	s_mov_b64 s[6:7], -1
	s_mov_b64 s[0:1], 0
                                        ; implicit-def: $vgpr2_vgpr3
	s_branch .LBB8_153
.LBB8_27:
	s_mov_b64 s[18:19], -1
	s_mov_b64 s[0:1], 0
	s_mov_b64 s[6:7], 0
	s_branch .LBB8_65
.LBB8_28:
	s_mov_b64 s[6:7], -1
	s_mov_b64 s[0:1], 0
                                        ; implicit-def: $vgpr2_vgpr3
	s_branch .LBB8_148
.LBB8_29:
	s_mov_b64 s[18:19], -1
	s_mov_b64 s[0:1], 0
	s_mov_b64 s[6:7], 0
	s_branch .LBB8_48
.LBB8_30:
	s_mov_b64 s[6:7], -1
	s_branch .LBB8_33
.LBB8_31:
	s_mov_b64 s[18:19], -1
	s_mov_b64 s[0:1], 0
	s_mov_b64 s[6:7], 0
	s_branch .LBB8_44
.LBB8_32:
	s_mov_b64 s[14:15], -1
.LBB8_33:
	s_mov_b64 s[0:1], 0
                                        ; implicit-def: $vgpr2_vgpr3
.LBB8_34:
	s_and_b64 vcc, exec, s[6:7]
	s_cbranch_vccz .LBB8_147
; %bb.35:
	v_cmp_eq_u16_e32 vcc, 44, v11
	s_cbranch_vccz .LBB8_146
; %bb.36:
	global_load_ubyte v4, v[0:1], off
	s_movk_i32 s6, 0xff
	v_bfrev_b32_e32 v5, 4
	v_mov_b32_e32 v6, 0x7ff80000
	v_bfrev_b32_e32 v7, 28
	s_mov_b64 s[0:1], -1
	s_mov_b64 s[14:15], 0
	s_waitcnt vmcnt(0)
	v_lshlrev_b32_e32 v2, 23, v4
	v_cvt_f64_f32_e32 v[2:3], v2
	v_cmp_ne_u32_e32 vcc, s6, v4
	v_cndmask_b32_e32 v2, v5, v2, vcc
	v_cndmask_b32_e32 v3, v6, v3, vcc
	v_cmp_ne_u32_e32 vcc, 0, v4
	v_cndmask_b32_e32 v3, v7, v3, vcc
	v_cndmask_b32_e32 v2, 0, v2, vcc
	s_branch .LBB8_147
.LBB8_37:
	s_mov_b64 s[18:19], -1
	s_mov_b64 s[0:1], 0
	s_mov_b64 s[6:7], 0
.LBB8_38:
	s_and_b64 vcc, exec, s[18:19]
	s_cbranch_vccz .LBB8_43
; %bb.39:
	v_mov_b32_e32 v2, 44
	v_cmp_eq_u16_sdwa s[18:19], v14, v2 src0_sel:BYTE_0 src1_sel:DWORD
	s_mov_b64 s[0:1], -1
	s_and_b64 vcc, exec, s[18:19]
	s_cbranch_vccz .LBB8_43
; %bb.40:
	v_cvt_f32_f64_e32 v2, v[0:1]
	v_bfe_u32 v3, v2, 23, 8
	s_movk_i32 s0, 0xff
	v_cmp_ne_u32_e32 vcc, s0, v3
	v_mov_b32_e32 v6, 0xff
	s_and_saveexec_b64 s[6:7], vcc
; %bb.41:
	s_mov_b32 s0, 0x3fffff
	v_lshrrev_b32_e32 v6, 23, v2
	v_and_b32_e32 v7, 0x400000, v2
	v_and_or_b32 v2, v2, s0, v3
	v_cmp_ne_u32_e32 vcc, 0, v7
	v_cmp_ne_u32_e64 s[0:1], 0, v2
	s_and_b64 s[0:1], vcc, s[0:1]
	v_cndmask_b32_e64 v2, 0, 1, s[0:1]
	v_add_u32_e32 v6, v6, v2
; %bb.42:
	s_or_b64 exec, exec, s[6:7]
	s_mov_b64 s[6:7], -1
	s_mov_b64 s[0:1], 0
	global_store_byte v[4:5], v6, off
.LBB8_43:
	s_mov_b64 s[18:19], 0
.LBB8_44:
	s_and_b64 vcc, exec, s[18:19]
	s_cbranch_vccz .LBB8_47
; %bb.45:
	v_mov_b32_e32 v2, 29
	v_cmp_eq_u16_sdwa s[18:19], v14, v2 src0_sel:BYTE_0 src1_sel:DWORD
	s_mov_b64 s[0:1], -1
	s_and_b64 vcc, exec, s[18:19]
	s_cbranch_vccz .LBB8_47
; %bb.46:
	v_trunc_f64_e32 v[2:3], v[0:1]
	s_movk_i32 s0, 0xffe0
	v_ldexp_f64 v[6:7], v[2:3], s0
	v_floor_f64_e32 v[6:7], v[6:7]
	v_fmac_f64_e32 v[2:3], 0xc1f00000, v[6:7]
	v_cvt_u32_f64_e32 v9, v[6:7]
	v_cvt_u32_f64_e32 v8, v[2:3]
	global_store_dwordx2 v[4:5], v[8:9], off
	s_mov_b64 s[6:7], -1
	s_mov_b64 s[0:1], 0
.LBB8_47:
	s_mov_b64 s[18:19], 0
.LBB8_48:
	s_and_b64 vcc, exec, s[18:19]
	s_cbranch_vccz .LBB8_64
; %bb.49:
	v_mov_b32_e32 v2, 27
	v_cmp_lt_i16_sdwa s[18:19], v14, v2 src0_sel:BYTE_0 src1_sel:DWORD
	s_mov_b64 s[6:7], -1
	s_and_b64 vcc, exec, s[18:19]
	s_cbranch_vccnz .LBB8_55
; %bb.50:
	v_cmp_gt_i16_sdwa s[18:19], v14, v2 src0_sel:BYTE_0 src1_sel:DWORD
	s_and_b64 vcc, exec, s[18:19]
	v_cvt_u32_f64_e32 v2, v[0:1]
	s_cbranch_vccz .LBB8_52
; %bb.51:
	s_mov_b64 s[6:7], 0
	global_store_dword v[4:5], v2, off
.LBB8_52:
	s_andn2_b64 vcc, exec, s[6:7]
	s_cbranch_vccnz .LBB8_54
; %bb.53:
	global_store_short v[4:5], v2, off
.LBB8_54:
	s_mov_b64 s[6:7], 0
.LBB8_55:
	s_andn2_b64 vcc, exec, s[6:7]
	s_cbranch_vccnz .LBB8_63
; %bb.56:
	v_cvt_f32_f64_e32 v2, v[0:1]
	v_and_b32_e32 v3, 0x7fffffff, v2
	s_mov_b32 s6, 0x43800000
	v_cmp_gt_u32_e32 vcc, s6, v3
	v_mov_b32_e32 v6, 0x80
	s_and_saveexec_b64 s[6:7], vcc
	s_cbranch_execz .LBB8_62
; %bb.57:
	s_mov_b32 s18, 0x3bffffff
	v_cmp_lt_u32_e32 vcc, s18, v3
	s_mov_b64 s[18:19], 0
                                        ; implicit-def: $vgpr3
	s_and_saveexec_b64 s[22:23], vcc
	s_xor_b64 s[22:23], exec, s[22:23]
	s_cbranch_execz .LBB8_287
; %bb.58:
	v_bfe_u32 v3, v2, 20, 1
	s_mov_b32 s24, 0x487ffff
	v_add3_u32 v3, v2, v3, s24
	s_mov_b64 s[18:19], exec
	v_lshrrev_b32_e32 v3, 20, v3
	s_or_saveexec_b64 s[22:23], s[22:23]
                                        ; implicit-def: $sgpr24
	s_xor_b64 exec, exec, s[22:23]
	s_cbranch_execnz .LBB8_288
.LBB8_59:
	s_or_b64 exec, exec, s[22:23]
	v_mov_b32_e32 v6, s24
	s_and_saveexec_b64 s[22:23], s[18:19]
.LBB8_60:
	v_lshrrev_b32_e32 v2, 24, v2
	s_movk_i32 s18, 0x80
	v_and_or_b32 v6, v2, s18, v3
.LBB8_61:
	s_or_b64 exec, exec, s[22:23]
.LBB8_62:
	s_or_b64 exec, exec, s[6:7]
	global_store_byte v[4:5], v6, off
.LBB8_63:
	s_mov_b64 s[6:7], -1
.LBB8_64:
	s_mov_b64 s[18:19], 0
.LBB8_65:
	s_and_b64 vcc, exec, s[18:19]
	s_cbranch_vccz .LBB8_106
; %bb.66:
	v_mov_b32_e32 v2, 22
	v_cmp_gt_i16_sdwa s[22:23], v14, v2 src0_sel:BYTE_0 src1_sel:DWORD
	s_mov_b64 s[18:19], -1
	s_and_b64 vcc, exec, s[22:23]
	s_cbranch_vccz .LBB8_98
; %bb.67:
	v_mov_b32_e32 v2, 24
	v_cmp_lt_i16_sdwa s[18:19], v14, v2 src0_sel:BYTE_0 src1_sel:DWORD
	s_mov_b64 s[6:7], -1
	s_and_b64 vcc, exec, s[18:19]
	s_cbranch_vccnz .LBB8_87
; %bb.68:
	v_cmp_gt_i16_sdwa s[18:19], v14, v2 src0_sel:BYTE_0 src1_sel:DWORD
	s_and_b64 vcc, exec, s[18:19]
	s_cbranch_vccz .LBB8_76
; %bb.69:
	v_cvt_f32_f64_e32 v2, v[0:1]
	v_and_b32_e32 v3, 0x7fffffff, v2
	s_mov_b32 s6, 0x47800000
	v_cmp_gt_u32_e32 vcc, s6, v3
	v_mov_b32_e32 v6, 0x80
	s_and_saveexec_b64 s[6:7], vcc
	s_cbranch_execz .LBB8_75
; %bb.70:
	s_mov_b32 s18, 0x37ffffff
	v_cmp_lt_u32_e32 vcc, s18, v3
	s_mov_b64 s[18:19], 0
                                        ; implicit-def: $vgpr3
	s_and_saveexec_b64 s[22:23], vcc
	s_xor_b64 s[22:23], exec, s[22:23]
	s_cbranch_execz .LBB8_291
; %bb.71:
	v_bfe_u32 v3, v2, 21, 1
	s_mov_b32 s24, 0x88fffff
	v_add3_u32 v3, v2, v3, s24
	s_mov_b64 s[18:19], exec
	v_lshrrev_b32_e32 v3, 21, v3
	s_or_saveexec_b64 s[22:23], s[22:23]
                                        ; implicit-def: $sgpr24
	s_xor_b64 exec, exec, s[22:23]
	s_cbranch_execnz .LBB8_292
.LBB8_72:
	s_or_b64 exec, exec, s[22:23]
	v_mov_b32_e32 v6, s24
	s_and_saveexec_b64 s[22:23], s[18:19]
.LBB8_73:
	v_lshrrev_b32_e32 v2, 24, v2
	s_movk_i32 s18, 0x80
	v_and_or_b32 v6, v2, s18, v3
.LBB8_74:
	s_or_b64 exec, exec, s[22:23]
.LBB8_75:
	s_or_b64 exec, exec, s[6:7]
	s_mov_b64 s[6:7], 0
	global_store_byte v[4:5], v6, off
.LBB8_76:
	s_and_b64 vcc, exec, s[6:7]
	s_cbranch_vccz .LBB8_86
; %bb.77:
	v_cvt_f32_f64_e32 v2, v[0:1]
	v_and_b32_e32 v6, 0x7fffffff, v2
	s_mov_b32 s6, 0x43f00000
	v_cmp_gt_u32_e32 vcc, s6, v6
                                        ; implicit-def: $vgpr3
	s_and_saveexec_b64 s[6:7], vcc
	s_xor_b64 s[6:7], exec, s[6:7]
	s_cbranch_execz .LBB8_83
; %bb.78:
	s_mov_b32 s18, 0x3c7fffff
	v_cmp_lt_u32_e32 vcc, s18, v6
                                        ; implicit-def: $vgpr3
	s_and_saveexec_b64 s[18:19], vcc
	s_xor_b64 s[18:19], exec, s[18:19]
; %bb.79:
	v_bfe_u32 v3, v2, 20, 1
	s_mov_b32 s22, 0x407ffff
	v_add3_u32 v3, v2, v3, s22
	v_lshrrev_b32_e32 v6, 20, v3
	v_and_b32_e32 v3, 0xff00000, v3
	s_mov_b32 s22, 0x7f00000
	v_mov_b32_e32 v7, 0x7e
	v_cmp_ne_u32_e32 vcc, s22, v3
	v_cndmask_b32_e32 v3, v7, v6, vcc
; %bb.80:
	s_andn2_saveexec_b64 s[18:19], s[18:19]
; %bb.81:
	s_mov_b32 s22, 0x46800000
	v_add_f32_e64 v3, |v2|, s22
; %bb.82:
	s_or_b64 exec, exec, s[18:19]
                                        ; implicit-def: $vgpr6
.LBB8_83:
	s_andn2_saveexec_b64 s[6:7], s[6:7]
; %bb.84:
	s_mov_b32 s18, 0x7f800000
	v_mov_b32_e32 v3, 0x7e
	v_mov_b32_e32 v7, 0x7f
	v_cmp_lt_u32_e32 vcc, s18, v6
	v_cndmask_b32_e32 v3, v3, v7, vcc
; %bb.85:
	s_or_b64 exec, exec, s[6:7]
	v_lshrrev_b32_e32 v2, 24, v2
	s_movk_i32 s6, 0x80
	v_and_or_b32 v2, v2, s6, v3
	global_store_byte v[4:5], v2, off
.LBB8_86:
	s_mov_b64 s[6:7], 0
.LBB8_87:
	s_andn2_b64 vcc, exec, s[6:7]
	s_cbranch_vccnz .LBB8_97
; %bb.88:
	v_cvt_f32_f64_e32 v2, v[0:1]
	v_and_b32_e32 v6, 0x7fffffff, v2
	s_mov_b32 s6, 0x47800000
	v_cmp_gt_u32_e32 vcc, s6, v6
                                        ; implicit-def: $vgpr3
	s_and_saveexec_b64 s[6:7], vcc
	s_xor_b64 s[6:7], exec, s[6:7]
	s_cbranch_execz .LBB8_94
; %bb.89:
	s_mov_b32 s18, 0x387fffff
	v_cmp_lt_u32_e32 vcc, s18, v6
                                        ; implicit-def: $vgpr3
	s_and_saveexec_b64 s[18:19], vcc
	s_xor_b64 s[18:19], exec, s[18:19]
; %bb.90:
	v_bfe_u32 v3, v2, 21, 1
	s_mov_b32 s22, 0x80fffff
	v_add3_u32 v3, v2, v3, s22
	v_lshrrev_b32_e32 v3, 21, v3
; %bb.91:
	s_andn2_saveexec_b64 s[18:19], s[18:19]
; %bb.92:
	s_mov_b32 s22, 0x43000000
	v_add_f32_e64 v3, |v2|, s22
; %bb.93:
	s_or_b64 exec, exec, s[18:19]
                                        ; implicit-def: $vgpr6
.LBB8_94:
	s_andn2_saveexec_b64 s[6:7], s[6:7]
; %bb.95:
	s_mov_b32 s18, 0x7f800000
	v_mov_b32_e32 v3, 0x7c
	v_mov_b32_e32 v7, 0x7f
	v_cmp_lt_u32_e32 vcc, s18, v6
	v_cndmask_b32_e32 v3, v3, v7, vcc
; %bb.96:
	s_or_b64 exec, exec, s[6:7]
	v_lshrrev_b32_e32 v2, 24, v2
	s_movk_i32 s6, 0x80
	v_and_or_b32 v2, v2, s6, v3
	global_store_byte v[4:5], v2, off
.LBB8_97:
	s_mov_b64 s[18:19], 0
	s_mov_b64 s[6:7], -1
.LBB8_98:
	s_andn2_b64 vcc, exec, s[18:19]
	s_cbranch_vccnz .LBB8_106
; %bb.99:
	v_mov_b32_e32 v2, 14
	v_cmp_gt_i16_sdwa s[22:23], v14, v2 src0_sel:BYTE_0 src1_sel:DWORD
	s_mov_b64 s[18:19], -1
	s_and_b64 vcc, exec, s[22:23]
	s_cbranch_vccz .LBB8_103
; %bb.100:
	v_mov_b32_e32 v2, 15
	v_cmp_eq_u16_sdwa s[18:19], v14, v2 src0_sel:BYTE_0 src1_sel:DWORD
	s_mov_b64 s[0:1], -1
	s_and_b64 vcc, exec, s[18:19]
	s_cbranch_vccz .LBB8_102
; %bb.101:
	v_cvt_f32_f64_e32 v2, v[0:1]
	v_bfe_u32 v3, v2, 16, 1
	s_movk_i32 s0, 0x7fff
	v_add3_u32 v3, v2, v3, s0
	v_lshrrev_b32_e32 v3, 16, v3
	v_mov_b32_e32 v6, 0x7fc0
	v_cmp_o_f32_e32 vcc, v2, v2
	v_cndmask_b32_e32 v2, v6, v3, vcc
	global_store_short v[4:5], v2, off
	s_mov_b64 s[6:7], -1
	s_mov_b64 s[0:1], 0
.LBB8_102:
	s_mov_b64 s[18:19], 0
.LBB8_103:
	s_and_b64 vcc, exec, s[18:19]
	s_cbranch_vccz .LBB8_106
; %bb.104:
	v_mov_b32_e32 v2, 11
	v_cmp_eq_u16_sdwa s[18:19], v14, v2 src0_sel:BYTE_0 src1_sel:DWORD
	s_mov_b64 s[0:1], -1
	s_and_b64 vcc, exec, s[18:19]
	s_cbranch_vccz .LBB8_106
; %bb.105:
	v_cmp_neq_f64_e32 vcc, 0, v[0:1]
	s_mov_b64 s[0:1], 0
	v_cndmask_b32_e64 v2, 0, 1, vcc
	s_mov_b64 s[6:7], -1
	global_store_byte v[4:5], v2, off
.LBB8_106:
	s_branch .LBB8_24
.LBB8_107:
	v_mov_b32_e32 v2, 5
	v_cmp_lt_i16_sdwa s[18:19], v14, v2 src0_sel:BYTE_0 src1_sel:DWORD
	s_mov_b64 s[6:7], -1
	s_and_b64 vcc, exec, s[18:19]
	s_cbranch_vccnz .LBB8_128
; %bb.108:
	v_mov_b32_e32 v2, 8
	v_cmp_lt_i16_sdwa s[18:19], v14, v2 src0_sel:BYTE_0 src1_sel:DWORD
	s_and_b64 vcc, exec, s[18:19]
	s_cbranch_vccnz .LBB8_118
; %bb.109:
	v_mov_b32_e32 v2, 9
	v_cmp_lt_i16_sdwa s[18:19], v14, v2 src0_sel:BYTE_0 src1_sel:DWORD
	s_and_b64 vcc, exec, s[18:19]
	s_cbranch_vccnz .LBB8_115
; %bb.110:
	v_cmp_gt_i16_sdwa s[18:19], v14, v2 src0_sel:BYTE_0 src1_sel:DWORD
	s_and_b64 vcc, exec, s[18:19]
	s_cbranch_vccz .LBB8_112
; %bb.111:
	v_mov_b32_e32 v2, 0
	v_mov_b32_e32 v3, v2
	global_store_dwordx4 v[4:5], v[0:3], off
	s_mov_b64 s[6:7], 0
.LBB8_112:
	s_andn2_b64 vcc, exec, s[6:7]
	s_cbranch_vccnz .LBB8_114
; %bb.113:
	v_cvt_f32_f64_e32 v2, v[0:1]
	v_mov_b32_e32 v3, 0
	global_store_dwordx2 v[4:5], v[2:3], off
.LBB8_114:
	s_mov_b64 s[6:7], 0
.LBB8_115:
	s_andn2_b64 vcc, exec, s[6:7]
	s_cbranch_vccnz .LBB8_117
; %bb.116:
	v_cvt_f32_f64_e32 v2, v[0:1]
	v_cvt_f16_f32_e32 v2, v2
	global_store_dword v[4:5], v2, off
.LBB8_117:
	s_mov_b64 s[6:7], 0
.LBB8_118:
	s_andn2_b64 vcc, exec, s[6:7]
	s_cbranch_vccnz .LBB8_127
; %bb.119:
	v_mov_b32_e32 v2, 6
	v_cmp_lt_i16_sdwa s[18:19], v14, v2 src0_sel:BYTE_0 src1_sel:DWORD
	s_mov_b64 s[6:7], -1
	s_and_b64 vcc, exec, s[18:19]
	s_cbranch_vccnz .LBB8_125
; %bb.120:
	v_cmp_gt_i16_sdwa s[18:19], v14, v2 src0_sel:BYTE_0 src1_sel:DWORD
	s_and_b64 vcc, exec, s[18:19]
	s_cbranch_vccz .LBB8_122
; %bb.121:
	global_store_dwordx2 v[4:5], v[0:1], off
	s_mov_b64 s[6:7], 0
.LBB8_122:
	s_andn2_b64 vcc, exec, s[6:7]
	s_cbranch_vccnz .LBB8_124
; %bb.123:
	v_cvt_f32_f64_e32 v2, v[0:1]
	global_store_dword v[4:5], v2, off
.LBB8_124:
	s_mov_b64 s[6:7], 0
.LBB8_125:
	s_andn2_b64 vcc, exec, s[6:7]
	s_cbranch_vccnz .LBB8_127
; %bb.126:
	v_cvt_f32_f64_e32 v2, v[0:1]
	v_cvt_f16_f32_e32 v2, v2
	global_store_short v[4:5], v2, off
.LBB8_127:
	s_mov_b64 s[6:7], 0
.LBB8_128:
	s_andn2_b64 vcc, exec, s[6:7]
	s_cbranch_vccnz .LBB8_144
; %bb.129:
	v_mov_b32_e32 v2, 2
	v_cmp_lt_i16_sdwa s[18:19], v14, v2 src0_sel:BYTE_0 src1_sel:DWORD
	s_mov_b64 s[6:7], -1
	s_and_b64 vcc, exec, s[18:19]
	s_cbranch_vccnz .LBB8_139
; %bb.130:
	v_mov_b32_e32 v2, 3
	v_cmp_lt_i16_sdwa s[18:19], v14, v2 src0_sel:BYTE_0 src1_sel:DWORD
	s_and_b64 vcc, exec, s[18:19]
	s_cbranch_vccnz .LBB8_136
; %bb.131:
	v_cmp_gt_i16_sdwa s[18:19], v14, v2 src0_sel:BYTE_0 src1_sel:DWORD
	s_and_b64 vcc, exec, s[18:19]
	s_cbranch_vccz .LBB8_133
; %bb.132:
	v_trunc_f64_e32 v[2:3], v[0:1]
	s_movk_i32 s6, 0xffe0
	v_ldexp_f64 v[6:7], v[2:3], s6
	v_floor_f64_e32 v[6:7], v[6:7]
	v_fmac_f64_e32 v[2:3], 0xc1f00000, v[6:7]
	v_cvt_i32_f64_e32 v9, v[6:7]
	v_cvt_u32_f64_e32 v8, v[2:3]
	global_store_dwordx2 v[4:5], v[8:9], off
	s_mov_b64 s[6:7], 0
.LBB8_133:
	s_andn2_b64 vcc, exec, s[6:7]
	s_cbranch_vccnz .LBB8_135
; %bb.134:
	v_cvt_i32_f64_e32 v2, v[0:1]
	global_store_dword v[4:5], v2, off
.LBB8_135:
	s_mov_b64 s[6:7], 0
.LBB8_136:
	s_andn2_b64 vcc, exec, s[6:7]
	s_cbranch_vccnz .LBB8_138
; %bb.137:
	v_cvt_i32_f64_e32 v2, v[0:1]
	global_store_short v[4:5], v2, off
.LBB8_138:
	s_mov_b64 s[6:7], 0
.LBB8_139:
	s_andn2_b64 vcc, exec, s[6:7]
	s_cbranch_vccnz .LBB8_144
; %bb.140:
	v_mov_b32_e32 v2, 0
	v_cmp_gt_i16_sdwa s[18:19], v14, v2 src0_sel:BYTE_0 src1_sel:DWORD
	s_mov_b64 s[6:7], -1
	s_and_b64 vcc, exec, s[18:19]
	s_cbranch_vccz .LBB8_142
; %bb.141:
	v_cvt_i32_f64_e32 v2, v[0:1]
	global_store_byte v[4:5], v2, off
	s_mov_b64 s[6:7], 0
.LBB8_142:
	s_andn2_b64 vcc, exec, s[6:7]
	s_cbranch_vccnz .LBB8_144
; %bb.143:
	v_trunc_f64_e32 v[0:1], v[0:1]
	s_movk_i32 s6, 0xffe0
	v_ldexp_f64 v[2:3], v[0:1], s6
	v_floor_f64_e32 v[2:3], v[2:3]
	v_fmac_f64_e32 v[0:1], 0xc1f00000, v[2:3]
	v_cvt_u32_f64_e32 v0, v[0:1]
	global_store_byte v[4:5], v0, off
.LBB8_144:
	s_branch .LBB8_25
.LBB8_145:
	s_mov_b64 s[18:19], 0
                                        ; implicit-def: $vgpr10
	s_branch .LBB8_255
.LBB8_146:
	s_mov_b64 s[14:15], -1
                                        ; implicit-def: $vgpr2_vgpr3
.LBB8_147:
	s_mov_b64 s[6:7], 0
.LBB8_148:
	s_and_b64 vcc, exec, s[6:7]
	s_cbranch_vccz .LBB8_152
; %bb.149:
	v_cmp_eq_u16_e32 vcc, 29, v11
	s_cbranch_vccz .LBB8_151
; %bb.150:
	global_load_dwordx2 v[2:3], v[0:1], off
	s_mov_b64 s[0:1], -1
	s_mov_b64 s[14:15], 0
	s_mov_b64 s[6:7], 0
	s_waitcnt vmcnt(0)
	v_cvt_f64_u32_e32 v[4:5], v3
	v_cvt_f64_u32_e32 v[2:3], v2
	v_ldexp_f64 v[4:5], v[4:5], 32
	v_add_f64 v[2:3], v[4:5], v[2:3]
	s_branch .LBB8_153
.LBB8_151:
	s_mov_b64 s[14:15], -1
                                        ; implicit-def: $vgpr2_vgpr3
.LBB8_152:
	s_mov_b64 s[6:7], 0
.LBB8_153:
	s_and_b64 vcc, exec, s[6:7]
	s_cbranch_vccz .LBB8_171
; %bb.154:
	v_cmp_gt_i16_e32 vcc, 27, v11
	s_cbranch_vccnz .LBB8_157
; %bb.155:
	v_cmp_lt_i16_e32 vcc, 27, v11
	s_cbranch_vccz .LBB8_158
; %bb.156:
	global_load_dword v2, v[0:1], off
	s_mov_b64 s[0:1], 0
	s_waitcnt vmcnt(0)
	v_cvt_f64_u32_e32 v[2:3], v2
	s_branch .LBB8_159
.LBB8_157:
	s_mov_b64 s[0:1], -1
                                        ; implicit-def: $vgpr2_vgpr3
	s_branch .LBB8_162
.LBB8_158:
	s_mov_b64 s[0:1], -1
                                        ; implicit-def: $vgpr2_vgpr3
.LBB8_159:
	s_andn2_b64 vcc, exec, s[0:1]
	s_cbranch_vccnz .LBB8_161
; %bb.160:
	global_load_ushort v2, v[0:1], off
	s_waitcnt vmcnt(0)
	v_cvt_f64_u32_e32 v[2:3], v2
.LBB8_161:
	s_mov_b64 s[0:1], 0
.LBB8_162:
	s_andn2_b64 vcc, exec, s[0:1]
	s_cbranch_vccnz .LBB8_170
; %bb.163:
	global_load_ubyte v4, v[0:1], off
	s_movk_i32 s0, 0x7f
                                        ; implicit-def: $sgpr6_sgpr7
	s_waitcnt vmcnt(0)
	v_cmp_lt_i16_e32 vcc, s0, v4
	s_mov_b64 s[0:1], 0
	s_and_saveexec_b64 s[18:19], vcc
	s_xor_b64 s[18:19], exec, s[18:19]
	s_cbranch_execz .LBB8_183
; %bb.164:
	s_movk_i32 s0, 0x80
	v_cmp_eq_u16_e32 vcc, s0, v4
	s_mov_b64 s[22:23], -1
                                        ; implicit-def: $sgpr6_sgpr7
	s_and_saveexec_b64 s[0:1], vcc
; %bb.165:
	s_mov_b32 s7, 0x7ff80000
	s_brev_b32 s6, 4
	s_xor_b64 s[22:23], exec, -1
; %bb.166:
	s_or_b64 exec, exec, s[0:1]
	s_and_b64 s[0:1], s[22:23], exec
	s_or_saveexec_b64 s[18:19], s[18:19]
	v_pk_mov_b32 v[2:3], s[6:7], s[6:7] op_sel:[0,1]
	s_xor_b64 exec, exec, s[18:19]
	s_cbranch_execnz .LBB8_184
.LBB8_167:
	s_or_b64 exec, exec, s[18:19]
	s_and_saveexec_b64 s[6:7], s[0:1]
	s_cbranch_execz .LBB8_169
.LBB8_168:
	v_and_b32_e32 v3, 0xffff, v4
	v_lshlrev_b32_e32 v2, 24, v4
	v_and_b32_e32 v4, 7, v3
	v_ffbh_u32_e32 v6, v4
	v_min_u32_e32 v6, 32, v6
	v_subrev_u32_e32 v7, 28, v6
	v_bfe_u32 v5, v3, 3, 4
	v_lshlrev_b32_e32 v3, v7, v3
	v_sub_u32_e32 v6, 29, v6
	v_and_b32_e32 v3, 7, v3
	v_cmp_eq_u32_e32 vcc, 0, v5
	v_cndmask_b32_e32 v5, v5, v6, vcc
	v_cndmask_b32_e32 v3, v4, v3, vcc
	v_mov_b32_e32 v4, 0x3b800000
	v_lshlrev_b32_e32 v3, 20, v3
	v_and_b32_e32 v2, 0x80000000, v2
	v_lshl_add_u32 v4, v5, 23, v4
	v_or3_b32 v2, v2, v4, v3
	v_cvt_f64_f32_e32 v[2:3], v2
.LBB8_169:
	s_or_b64 exec, exec, s[6:7]
.LBB8_170:
	s_mov_b64 s[0:1], -1
.LBB8_171:
	s_branch .LBB8_206
.LBB8_172:
	v_cmp_lt_i16_e32 vcc, 22, v11
	s_cbranch_vccz .LBB8_182
; %bb.173:
	v_cmp_gt_i16_e32 vcc, 24, v11
	s_cbranch_vccnz .LBB8_185
; %bb.174:
	v_cmp_lt_i16_e32 vcc, 24, v11
	s_cbranch_vccz .LBB8_186
; %bb.175:
	global_load_ubyte v4, v[0:1], off
	s_movk_i32 s0, 0x7f
                                        ; implicit-def: $sgpr6_sgpr7
	s_waitcnt vmcnt(0)
	v_cmp_lt_i16_e32 vcc, s0, v4
	s_mov_b64 s[0:1], 0
	s_and_saveexec_b64 s[18:19], vcc
	s_xor_b64 s[18:19], exec, s[18:19]
	s_cbranch_execz .LBB8_198
; %bb.176:
	s_movk_i32 s0, 0x80
	v_cmp_eq_u16_e32 vcc, s0, v4
	s_mov_b64 s[22:23], -1
                                        ; implicit-def: $sgpr6_sgpr7
	s_and_saveexec_b64 s[0:1], vcc
; %bb.177:
	s_mov_b32 s7, 0x7ff80000
	s_brev_b32 s6, 4
	s_xor_b64 s[22:23], exec, -1
; %bb.178:
	s_or_b64 exec, exec, s[0:1]
	s_and_b64 s[0:1], s[22:23], exec
	s_or_saveexec_b64 s[18:19], s[18:19]
	v_pk_mov_b32 v[2:3], s[6:7], s[6:7] op_sel:[0,1]
	s_xor_b64 exec, exec, s[18:19]
	s_cbranch_execnz .LBB8_199
.LBB8_179:
	s_or_b64 exec, exec, s[18:19]
	s_and_saveexec_b64 s[6:7], s[0:1]
	s_cbranch_execz .LBB8_181
.LBB8_180:
	v_and_b32_e32 v3, 0xffff, v4
	v_lshlrev_b32_e32 v2, 24, v4
	v_and_b32_e32 v4, 3, v3
	v_ffbh_u32_e32 v6, v4
	v_min_u32_e32 v6, 32, v6
	v_subrev_u32_e32 v7, 29, v6
	v_bfe_u32 v5, v3, 2, 5
	v_lshlrev_b32_e32 v3, v7, v3
	v_sub_u32_e32 v6, 30, v6
	v_and_b32_e32 v3, 3, v3
	v_cmp_eq_u32_e32 vcc, 0, v5
	v_cndmask_b32_e32 v5, v5, v6, vcc
	v_cndmask_b32_e32 v3, v4, v3, vcc
	v_mov_b32_e32 v4, 0x37800000
	v_lshlrev_b32_e32 v3, 21, v3
	v_and_b32_e32 v2, 0x80000000, v2
	v_lshl_add_u32 v4, v5, 23, v4
	v_or3_b32 v2, v2, v4, v3
	v_cvt_f64_f32_e32 v[2:3], v2
.LBB8_181:
	s_or_b64 exec, exec, s[6:7]
	s_mov_b64 s[0:1], 0
	s_branch .LBB8_187
.LBB8_182:
	s_mov_b64 s[6:7], -1
                                        ; implicit-def: $vgpr2_vgpr3
	s_branch .LBB8_193
.LBB8_183:
	s_or_saveexec_b64 s[18:19], s[18:19]
	v_pk_mov_b32 v[2:3], s[6:7], s[6:7] op_sel:[0,1]
	s_xor_b64 exec, exec, s[18:19]
	s_cbranch_execz .LBB8_167
.LBB8_184:
	v_cmp_ne_u16_e32 vcc, 0, v4
	s_andn2_b64 s[0:1], s[0:1], exec
	s_and_b64 s[6:7], vcc, exec
	v_pk_mov_b32 v[2:3], 0, 0
	s_or_b64 s[0:1], s[0:1], s[6:7]
	s_or_b64 exec, exec, s[18:19]
	s_and_saveexec_b64 s[6:7], s[0:1]
	s_cbranch_execnz .LBB8_168
	s_branch .LBB8_169
.LBB8_185:
	s_mov_b64 s[0:1], -1
                                        ; implicit-def: $vgpr2_vgpr3
	s_branch .LBB8_190
.LBB8_186:
	s_mov_b64 s[0:1], -1
                                        ; implicit-def: $vgpr2_vgpr3
.LBB8_187:
	s_and_b64 vcc, exec, s[0:1]
	s_cbranch_vccz .LBB8_189
; %bb.188:
	global_load_ubyte v2, v[0:1], off
	s_mov_b32 s0, 0x7f800000
	s_waitcnt vmcnt(0)
	v_lshlrev_b32_e32 v2, 24, v2
	v_and_b32_e32 v3, 0x7f000000, v2
	v_ffbh_u32_e32 v4, v3
	v_min_u32_e32 v4, 32, v4
	v_sub_u32_e64 v4, v4, 4 clamp
	v_lshlrev_b32_e32 v6, v4, v3
	v_lshlrev_b32_e32 v4, 23, v4
	v_lshrrev_b32_e32 v6, 4, v6
	v_add_u32_e32 v5, 0x1000000, v3
	v_sub_u32_e32 v4, v6, v4
	v_ashrrev_i32_e32 v5, 8, v5
	v_add_u32_e32 v4, 0x3c000000, v4
	v_and_or_b32 v4, v5, s0, v4
	v_cmp_ne_u32_e32 vcc, 0, v3
	v_cndmask_b32_e32 v3, 0, v4, vcc
	s_brev_b32 s0, 1
	v_and_or_b32 v2, v2, s0, v3
	v_cvt_f64_f32_e32 v[2:3], v2
.LBB8_189:
	s_mov_b64 s[0:1], 0
.LBB8_190:
	s_andn2_b64 vcc, exec, s[0:1]
	s_cbranch_vccnz .LBB8_192
; %bb.191:
	global_load_ubyte v2, v[0:1], off
	s_movk_i32 s0, 0x7f00
	s_brev_b32 s1, 16
	s_waitcnt vmcnt(0)
	v_lshlrev_b16_e32 v3, 8, v2
	v_lshlrev_b32_e32 v2, 25, v2
	v_lshrrev_b32_e32 v4, 4, v2
	v_and_or_b32 v5, v3, s0, 0.5
	v_or_b32_e32 v4, 0x70000000, v4
	v_add_f32_e32 v5, -0.5, v5
	v_mul_f32_e32 v4, 0x7800000, v4
	v_cmp_gt_u32_e32 vcc, s1, v2
	v_bfe_i32 v3, v3, 0, 16
	v_cndmask_b32_e32 v2, v4, v5, vcc
	s_brev_b32 s0, 1
	v_and_or_b32 v2, v3, s0, v2
	v_cvt_f64_f32_e32 v[2:3], v2
.LBB8_192:
	s_mov_b64 s[6:7], 0
	s_mov_b64 s[0:1], -1
.LBB8_193:
	s_andn2_b64 vcc, exec, s[6:7]
	s_cbranch_vccnz .LBB8_206
; %bb.194:
	v_cmp_lt_i16_e32 vcc, 14, v11
	s_cbranch_vccz .LBB8_197
; %bb.195:
	v_cmp_eq_u16_e32 vcc, 15, v11
	s_cbranch_vccz .LBB8_200
; %bb.196:
	global_load_ushort v2, v[0:1], off
	s_mov_b64 s[0:1], -1
	s_mov_b64 s[14:15], 0
	s_waitcnt vmcnt(0)
	v_lshlrev_b32_e32 v2, 16, v2
	v_cvt_f64_f32_e32 v[2:3], v2
	s_branch .LBB8_201
.LBB8_197:
	s_mov_b64 s[6:7], -1
                                        ; implicit-def: $vgpr2_vgpr3
	s_branch .LBB8_202
.LBB8_198:
	s_or_saveexec_b64 s[18:19], s[18:19]
	v_pk_mov_b32 v[2:3], s[6:7], s[6:7] op_sel:[0,1]
	s_xor_b64 exec, exec, s[18:19]
	s_cbranch_execz .LBB8_179
.LBB8_199:
	v_cmp_ne_u16_e32 vcc, 0, v4
	s_andn2_b64 s[0:1], s[0:1], exec
	s_and_b64 s[6:7], vcc, exec
	v_pk_mov_b32 v[2:3], 0, 0
	s_or_b64 s[0:1], s[0:1], s[6:7]
	s_or_b64 exec, exec, s[18:19]
	s_and_saveexec_b64 s[6:7], s[0:1]
	s_cbranch_execnz .LBB8_180
	s_branch .LBB8_181
.LBB8_200:
	s_mov_b64 s[14:15], -1
                                        ; implicit-def: $vgpr2_vgpr3
.LBB8_201:
	s_mov_b64 s[6:7], 0
.LBB8_202:
	s_and_b64 vcc, exec, s[6:7]
	s_cbranch_vccz .LBB8_206
; %bb.203:
	v_cmp_eq_u16_e32 vcc, 11, v11
	s_cbranch_vccz .LBB8_205
; %bb.204:
	global_load_ubyte v3, v[0:1], off
	v_mov_b32_e32 v4, 0x3ff00000
	v_mov_b32_e32 v2, 0
	s_mov_b64 s[0:1], -1
	s_mov_b64 s[14:15], 0
	s_waitcnt vmcnt(0)
	v_cmp_ne_u16_e32 vcc, 0, v3
	v_cndmask_b32_e32 v3, 0, v4, vcc
	s_branch .LBB8_206
.LBB8_205:
	s_mov_b64 s[14:15], -1
                                        ; implicit-def: $vgpr2_vgpr3
.LBB8_206:
	s_branch .LBB8_10
.LBB8_207:
	v_cmp_gt_i16_e32 vcc, 5, v11
	s_cbranch_vccnz .LBB8_212
; %bb.208:
	v_cmp_gt_i16_e32 vcc, 8, v11
	s_cbranch_vccnz .LBB8_213
; %bb.209:
	;; [unrolled: 3-line block ×3, first 2 shown]
	v_cmp_lt_i16_e32 vcc, 9, v11
	s_cbranch_vccz .LBB8_215
; %bb.211:
	global_load_dwordx2 v[2:3], v[0:1], off
	s_mov_b64 s[0:1], 0
	s_branch .LBB8_216
.LBB8_212:
                                        ; implicit-def: $vgpr2_vgpr3
	s_branch .LBB8_234
.LBB8_213:
	s_mov_b64 s[0:1], -1
                                        ; implicit-def: $vgpr2_vgpr3
	s_branch .LBB8_222
.LBB8_214:
	s_mov_b64 s[0:1], -1
                                        ; implicit-def: $vgpr2_vgpr3
	s_branch .LBB8_219
.LBB8_215:
	s_mov_b64 s[0:1], -1
                                        ; implicit-def: $vgpr2_vgpr3
.LBB8_216:
	s_andn2_b64 vcc, exec, s[0:1]
	s_cbranch_vccnz .LBB8_218
; %bb.217:
	global_load_dword v2, v[0:1], off
	s_waitcnt vmcnt(0)
	v_cvt_f64_f32_e32 v[2:3], v2
.LBB8_218:
	s_mov_b64 s[0:1], 0
.LBB8_219:
	s_andn2_b64 vcc, exec, s[0:1]
	s_cbranch_vccnz .LBB8_221
; %bb.220:
	global_load_dword v2, v[0:1], off
	s_waitcnt vmcnt(0)
	v_cvt_f32_f16_e32 v2, v2
	v_cvt_f64_f32_e32 v[2:3], v2
.LBB8_221:
	s_mov_b64 s[0:1], 0
.LBB8_222:
	s_andn2_b64 vcc, exec, s[0:1]
	s_cbranch_vccnz .LBB8_233
; %bb.223:
	v_cmp_gt_i16_e32 vcc, 6, v11
	s_cbranch_vccnz .LBB8_226
; %bb.224:
	v_cmp_lt_i16_e32 vcc, 6, v11
	s_cbranch_vccz .LBB8_227
; %bb.225:
	global_load_dwordx2 v[2:3], v[0:1], off
	s_mov_b64 s[0:1], 0
	s_branch .LBB8_228
.LBB8_226:
	s_mov_b64 s[0:1], -1
                                        ; implicit-def: $vgpr2_vgpr3
	s_branch .LBB8_231
.LBB8_227:
	s_mov_b64 s[0:1], -1
                                        ; implicit-def: $vgpr2_vgpr3
.LBB8_228:
	s_andn2_b64 vcc, exec, s[0:1]
	s_cbranch_vccnz .LBB8_230
; %bb.229:
	global_load_dword v2, v[0:1], off
	s_waitcnt vmcnt(0)
	v_cvt_f64_f32_e32 v[2:3], v2
.LBB8_230:
	s_mov_b64 s[0:1], 0
.LBB8_231:
	s_andn2_b64 vcc, exec, s[0:1]
	s_cbranch_vccnz .LBB8_233
; %bb.232:
	global_load_ushort v2, v[0:1], off
	s_waitcnt vmcnt(0)
	v_cvt_f32_f16_e32 v2, v2
	v_cvt_f64_f32_e32 v[2:3], v2
.LBB8_233:
	s_cbranch_execnz .LBB8_253
.LBB8_234:
	v_cmp_gt_i16_e32 vcc, 2, v11
	s_cbranch_vccnz .LBB8_238
; %bb.235:
	v_cmp_gt_i16_e32 vcc, 3, v11
	s_cbranch_vccnz .LBB8_239
; %bb.236:
	v_cmp_lt_i16_e32 vcc, 3, v11
	s_cbranch_vccz .LBB8_240
; %bb.237:
	global_load_dwordx2 v[2:3], v[0:1], off
	s_mov_b64 s[0:1], 0
	s_waitcnt vmcnt(0)
	v_cvt_f64_i32_e32 v[4:5], v3
	v_cvt_f64_u32_e32 v[2:3], v2
	v_ldexp_f64 v[4:5], v[4:5], 32
	v_add_f64 v[2:3], v[4:5], v[2:3]
	s_branch .LBB8_241
.LBB8_238:
	s_mov_b64 s[0:1], -1
                                        ; implicit-def: $vgpr2_vgpr3
	s_branch .LBB8_247
.LBB8_239:
	s_mov_b64 s[0:1], -1
                                        ; implicit-def: $vgpr2_vgpr3
	s_branch .LBB8_244
.LBB8_240:
	s_mov_b64 s[0:1], -1
                                        ; implicit-def: $vgpr2_vgpr3
.LBB8_241:
	s_andn2_b64 vcc, exec, s[0:1]
	s_cbranch_vccnz .LBB8_243
; %bb.242:
	global_load_dword v2, v[0:1], off
	s_waitcnt vmcnt(0)
	v_cvt_f64_i32_e32 v[2:3], v2
.LBB8_243:
	s_mov_b64 s[0:1], 0
.LBB8_244:
	s_andn2_b64 vcc, exec, s[0:1]
	s_cbranch_vccnz .LBB8_246
; %bb.245:
	global_load_sshort v2, v[0:1], off
	s_waitcnt vmcnt(0)
	v_cvt_f64_i32_e32 v[2:3], v2
.LBB8_246:
	s_mov_b64 s[0:1], 0
.LBB8_247:
	s_andn2_b64 vcc, exec, s[0:1]
	s_cbranch_vccnz .LBB8_253
; %bb.248:
	v_cmp_lt_i16_e32 vcc, 0, v11
	s_cbranch_vccz .LBB8_250
; %bb.249:
	global_load_sbyte v2, v[0:1], off
	s_mov_b64 s[0:1], 0
	s_waitcnt vmcnt(0)
	v_cvt_f64_i32_e32 v[2:3], v2
	s_branch .LBB8_251
.LBB8_250:
	s_mov_b64 s[0:1], -1
                                        ; implicit-def: $vgpr2_vgpr3
.LBB8_251:
	s_andn2_b64 vcc, exec, s[0:1]
	s_cbranch_vccnz .LBB8_253
; %bb.252:
	global_load_ubyte v0, v[0:1], off
	s_waitcnt vmcnt(0)
	v_cvt_f64_u32_e32 v[2:3], v0
.LBB8_253:
	s_branch .LBB8_11
.LBB8_254:
	s_mov_b64 s[0:1], 0
                                        ; implicit-def: $vgpr10
	s_mov_b64 s[18:19], 0
.LBB8_255:
	s_and_b64 s[6:7], s[0:1], exec
	s_and_b64 s[14:15], s[14:15], exec
	s_orn2_b64 s[18:19], s[18:19], exec
.LBB8_256:
	s_or_b64 exec, exec, s[16:17]
	s_mov_b64 s[22:23], 0
	s_mov_b64 s[0:1], 0
                                        ; implicit-def: $vgpr0_vgpr1
                                        ; implicit-def: $vgpr2_vgpr3
	s_and_saveexec_b64 s[16:17], s[18:19]
	s_cbranch_execz .LBB8_265
; %bb.257:
	v_cmp_gt_i32_e32 vcc, s33, v10
	s_mov_b64 s[0:1], -1
	s_mov_b64 s[18:19], s[14:15]
	s_mov_b64 s[20:21], s[6:7]
	s_and_saveexec_b64 s[22:23], vcc
	s_cbranch_execz .LBB8_521
; %bb.258:
	v_mul_lo_u32 v0, v10, s3
	v_ashrrev_i32_e32 v1, 31, v0
	s_waitcnt vmcnt(0)
	v_mov_b32_e32 v2, s11
	v_add_co_u32_e32 v0, vcc, s10, v0
	v_addc_co_u32_e32 v1, vcc, v2, v1, vcc
	v_cmp_gt_i16_e32 vcc, 11, v11
	s_cbranch_vccnz .LBB8_268
; %bb.259:
	v_cmp_lt_i16_e32 vcc, 25, v11
	s_cbranch_vccz .LBB8_281
; %bb.260:
	v_cmp_lt_i16_e32 vcc, 28, v11
	s_cbranch_vccz .LBB8_283
	;; [unrolled: 3-line block ×4, first 2 shown]
; %bb.263:
	v_cmp_eq_u16_e32 vcc, 46, v11
	s_mov_b64 s[20:21], 0
	s_cbranch_vccz .LBB8_293
; %bb.264:
	global_load_dword v2, v[0:1], off
	s_mov_b64 s[18:19], 0
	s_waitcnt vmcnt(0)
	v_lshlrev_b32_e32 v2, 16, v2
	v_cvt_f64_f32_e32 v[2:3], v2
	s_branch .LBB8_294
.LBB8_265:
	s_or_b64 exec, exec, s[16:17]
	s_mov_b64 s[16:17], 0
	s_and_saveexec_b64 s[18:19], s[14:15]
	s_cbranch_execnz .LBB8_871
.LBB8_266:
	s_or_b64 exec, exec, s[18:19]
	s_and_saveexec_b64 s[14:15], s[20:21]
	s_xor_b64 s[14:15], exec, s[14:15]
	s_cbranch_execz .LBB8_872
.LBB8_267:
	global_load_ubyte v3, v[0:1], off
	v_mov_b32_e32 v4, 0x3ff00000
	s_waitcnt vmcnt(1)
	v_mov_b32_e32 v2, 0
	s_or_b64 s[0:1], s[0:1], exec
	s_waitcnt vmcnt(0)
	v_cmp_ne_u16_e32 vcc, 0, v3
	v_cndmask_b32_e32 v3, 0, v4, vcc
	s_or_b64 exec, exec, s[14:15]
	s_and_saveexec_b64 s[14:15], s[22:23]
	s_cbranch_execz .LBB8_918
	s_branch .LBB8_873
.LBB8_268:
	s_mov_b64 s[0:1], 0
                                        ; implicit-def: $vgpr2_vgpr3
	s_mov_b64 s[18:19], s[14:15]
	s_cbranch_execnz .LBB8_471
.LBB8_269:
	s_andn2_b64 vcc, exec, s[0:1]
	s_cbranch_vccnz .LBB8_519
.LBB8_270:
	s_mov_b32 s0, 0
	s_mov_b32 s1, 0x40200000
	s_waitcnt vmcnt(0)
	v_cmp_le_f64_e64 s[0:1], |v[2:3]|, s[0:1]
                                        ; implicit-def: $vgpr0_vgpr1
	s_and_saveexec_b64 s[20:21], s[0:1]
	s_xor_b64 s[0:1], exec, s[20:21]
	s_cbranch_execz .LBB8_272
; %bb.271:
	s_mov_b32 s20, 0x2134d0ef
	v_fma_f64 v[0:1], |v[2:3]|, 0.5, -2.0
	v_mov_b32_e32 v4, 0x977da589
	v_mov_b32_e32 v5, 0x3c833362
	s_mov_b32 s21, 0xbc545cb7
	v_fmac_f64_e32 v[4:5], s[20:21], v[0:1]
	v_mov_b32_e32 v6, 0x2134d0ef
	v_mov_b32_e32 v7, 0x3c545cb7
	s_mov_b32 s20, 0x721ebbb4
	v_fmac_f64_e32 v[6:7], v[0:1], v[4:5]
	s_mov_b32 s21, 0xbcb184eb
	v_add_f64 v[6:7], v[6:7], s[20:21]
	s_mov_b32 s20, 0x93f65eba
	v_fma_f64 v[4:5], v[0:1], v[6:7], -v[4:5]
	s_mov_b32 s21, 0x3cdee6d8
	v_add_f64 v[4:5], v[4:5], s[20:21]
	s_mov_b32 s20, 0xc297fbeb
	v_fma_f64 v[6:7], v[0:1], v[4:5], -v[6:7]
	;; [unrolled: 4-line block ×27, first 2 shown]
	s_mov_b32 s21, 0x3fe5a84e
	v_add_f64 v[0:1], v[0:1], s[20:21]
	s_mov_b32 s20, 0x652b82fe
	s_mov_b32 s21, 0x3ff71547
	v_mul_f64 v[6:7], |v[2:3]|, s[20:21]
	s_mov_b32 s20, 0xfefa39ef
	v_rndne_f64_e32 v[6:7], v[6:7]
	s_mov_b32 s21, 0xbfe62e42
	v_fma_f64 v[8:9], v[6:7], s[20:21], |v[2:3]|
	s_mov_b32 s20, 0x3b39803f
	s_mov_b32 s21, 0xbc7abc9e
	v_fmac_f64_e32 v[8:9], s[20:21], v[6:7]
	s_mov_b32 s20, 0x6a5dcb37
	v_mov_b32_e32 v12, 0xfca7ab0c
	v_mov_b32_e32 v13, 0x3e928af3
	s_mov_b32 s21, 0x3e5ade15
	v_fmac_f64_e32 v[12:13], s[20:21], v[8:9]
	v_mov_b32_e32 v16, 0x623fde64
	v_mov_b32_e32 v17, 0x3ec71dee
	v_fmac_f64_e32 v[16:17], v[8:9], v[12:13]
	v_mov_b32_e32 v12, 0x7c89e6b0
	v_mov_b32_e32 v13, 0x3efa0199
	;; [unrolled: 3-line block ×8, first 2 shown]
	v_fmac_f64_e32 v[12:13], v[8:9], v[16:17]
	v_fma_f64 v[12:13], v[8:9], v[12:13], 1.0
	s_mov_b32 s20, 0
	v_fma_f64 v[8:9], v[8:9], v[12:13], 1.0
	v_cvt_i32_f64_e32 v6, v[6:7]
	s_mov_b32 s21, 0x40900000
	v_ldexp_f64 v[6:7], v[8:9], v6
	v_mov_b32_e32 v8, 0x7ff00000
	v_cmp_ngt_f64_e64 vcc, |v[2:3]|, s[20:21]
	v_add_f64 v[0:1], v[0:1], -v[4:5]
	v_cndmask_b32_e32 v3, v8, v7, vcc
	v_cndmask_b32_e32 v2, 0, v6, vcc
	v_mul_f64 v[0:1], v[0:1], 0.5
	v_mul_f64 v[0:1], v[2:3], v[0:1]
                                        ; implicit-def: $vgpr2_vgpr3
.LBB8_272:
	s_andn2_saveexec_b64 s[0:1], s[0:1]
	s_cbranch_execz .LBB8_274
; %bb.273:
	s_mov_b32 s20, 0
	v_and_b32_e32 v1, 0x7fffffff, v3
	v_mov_b32_e32 v0, v2
	s_mov_b32 s21, 0x40400000
	v_div_scale_f64 v[4:5], s[24:25], v[0:1], v[0:1], s[20:21]
	v_rcp_f64_e32 v[6:7], v[4:5]
	v_div_scale_f64 v[0:1], vcc, s[20:21], v[0:1], s[20:21]
	v_mov_b32_e32 v12, 0xfca7ab0c
	v_fma_f64 v[8:9], -v[4:5], v[6:7], 1.0
	v_fmac_f64_e32 v[6:7], v[6:7], v[8:9]
	v_fma_f64 v[8:9], -v[4:5], v[6:7], 1.0
	v_fmac_f64_e32 v[6:7], v[6:7], v[8:9]
	v_mul_f64 v[8:9], v[0:1], v[6:7]
	v_fma_f64 v[0:1], -v[4:5], v[8:9], v[0:1]
	v_div_fmas_f64 v[0:1], v[0:1], v[6:7], v[8:9]
	v_div_fixup_f64 v[0:1], v[0:1], |v[2:3]|, s[20:21]
	s_mov_b32 s20, 0x54ca8b19
	v_add_f64 v[0:1], v[0:1], -2.0
	v_mov_b32_e32 v4, 0x66119130
	v_mov_b32_e32 v5, 0xbc5646da
	s_mov_b32 s21, 0xbc60adb7
	v_fmac_f64_e32 v[4:5], s[20:21], v[0:1]
	v_mov_b32_e32 v6, 0x54ca8b19
	v_mov_b32_e32 v7, 0x3c60adb7
	s_mov_b32 s20, 0x12d98421
	v_fmac_f64_e32 v[6:7], v[0:1], v[4:5]
	s_mov_b32 s21, 0x3c89be18
	v_add_f64 v[6:7], v[6:7], s[20:21]
	s_mov_b32 s20, 0x76041cd
	v_fma_f64 v[4:5], v[0:1], v[6:7], -v[4:5]
	s_mov_b32 s21, 0x3c83f3dd
	v_add_f64 v[4:5], v[4:5], s[20:21]
	s_mov_b32 s20, 0xabd21fe4
	v_fma_f64 v[6:7], v[0:1], v[4:5], -v[6:7]
	;; [unrolled: 4-line block ×22, first 2 shown]
	s_mov_b32 s21, 0x3fe9be62
	v_add_f64 v[0:1], v[0:1], s[20:21]
	s_mov_b32 s20, 0x652b82fe
	s_mov_b32 s21, 0x3ff71547
	v_mul_f64 v[4:5], |v[2:3]|, s[20:21]
	s_mov_b32 s20, 0xfefa39ef
	v_rndne_f64_e32 v[4:5], v[4:5]
	s_mov_b32 s21, 0xbfe62e42
	v_fma_f64 v[8:9], v[4:5], s[20:21], |v[2:3]|
	s_mov_b32 s20, 0x3b39803f
	s_mov_b32 s21, 0xbc7abc9e
	v_fmac_f64_e32 v[8:9], s[20:21], v[4:5]
	s_mov_b32 s20, 0x6a5dcb37
	v_mov_b32_e32 v13, 0x3e928af3
	s_mov_b32 s21, 0x3e5ade15
	v_fmac_f64_e32 v[12:13], s[20:21], v[8:9]
	v_mov_b32_e32 v16, 0x623fde64
	v_mov_b32_e32 v17, 0x3ec71dee
	v_fmac_f64_e32 v[16:17], v[8:9], v[12:13]
	v_mov_b32_e32 v12, 0x7c89e6b0
	v_mov_b32_e32 v13, 0x3efa0199
	;; [unrolled: 3-line block ×8, first 2 shown]
	v_fmac_f64_e32 v[12:13], v[8:9], v[16:17]
	s_mov_b32 s20, 0
	v_fma_f64 v[12:13], v[8:9], v[12:13], 1.0
	s_mov_b32 s21, 0x40900000
	v_fma_f64 v[8:9], v[8:9], v[12:13], 1.0
	v_cvt_i32_f64_e32 v4, v[4:5]
	v_cmp_ngt_f64_e64 vcc, |v[2:3]|, s[20:21]
	s_mov_b32 s20, 0
	v_ldexp_f64 v[4:5], v[8:9], v4
	v_mov_b32_e32 v8, 0x7ff00000
	s_brev_b32 s21, 8
	v_cndmask_b32_e32 v5, v8, v5, vcc
	v_cndmask_b32_e32 v4, 0, v4, vcc
	v_cmp_lt_f64_e64 vcc, |v[2:3]|, s[20:21]
	v_cndmask_b32_e64 v8, 0, 1, vcc
	v_lshlrev_b32_e32 v8, 8, v8
	v_ldexp_f64 v[2:3], |v[2:3]|, v8
	v_rsq_f64_e32 v[8:9], v[2:3]
	v_add_f64 v[0:1], v[0:1], -v[6:7]
	v_mul_f64 v[0:1], v[0:1], 0.5
	v_mul_f64 v[0:1], v[4:5], v[0:1]
	v_mul_f64 v[4:5], v[2:3], v[8:9]
	v_mul_f64 v[6:7], v[8:9], 0.5
	v_fma_f64 v[8:9], -v[6:7], v[4:5], 0.5
	v_fmac_f64_e32 v[4:5], v[4:5], v[8:9]
	v_fma_f64 v[12:13], -v[4:5], v[4:5], v[2:3]
	v_fmac_f64_e32 v[6:7], v[6:7], v[8:9]
	v_fmac_f64_e32 v[4:5], v[12:13], v[6:7]
	v_fma_f64 v[8:9], -v[4:5], v[4:5], v[2:3]
	v_fmac_f64_e32 v[4:5], v[8:9], v[6:7]
	v_mov_b32_e32 v6, 0xffffff80
	v_cndmask_b32_e32 v6, 0, v6, vcc
	v_ldexp_f64 v[4:5], v[4:5], v6
	v_mov_b32_e32 v6, 0x260
	v_cmp_class_f64_e32 vcc, v[2:3], v6
	v_cndmask_b32_e32 v3, v5, v3, vcc
	v_cndmask_b32_e32 v2, v4, v2, vcc
	v_div_scale_f64 v[4:5], s[20:21], v[2:3], v[2:3], v[0:1]
	v_rcp_f64_e32 v[6:7], v[4:5]
	v_fma_f64 v[8:9], -v[4:5], v[6:7], 1.0
	v_fmac_f64_e32 v[6:7], v[6:7], v[8:9]
	v_fma_f64 v[8:9], -v[4:5], v[6:7], 1.0
	v_fmac_f64_e32 v[6:7], v[6:7], v[8:9]
	v_div_scale_f64 v[8:9], vcc, v[0:1], v[2:3], v[0:1]
	v_mul_f64 v[12:13], v[8:9], v[6:7]
	v_fma_f64 v[4:5], -v[4:5], v[12:13], v[8:9]
	s_nop 1
	v_div_fmas_f64 v[4:5], v[4:5], v[6:7], v[12:13]
	v_div_fixup_f64 v[0:1], v[4:5], v[2:3], v[0:1]
.LBB8_274:
	s_or_b64 exec, exec, s[0:1]
	v_mul_lo_u32 v2, v10, s2
	v_ashrrev_i32_e32 v3, 31, v2
	v_mov_b32_e32 v5, s9
	v_add_co_u32_e32 v4, vcc, s8, v2
	v_mov_b32_e32 v2, 11
	v_addc_co_u32_e32 v5, vcc, v5, v3, vcc
	v_cmp_lt_i16_sdwa s[0:1], v14, v2 src0_sel:BYTE_0 src1_sel:DWORD
	s_and_b64 vcc, exec, s[0:1]
	s_cbranch_vccnz .LBB8_282
; %bb.275:
	v_mov_b32_e32 v2, 25
	v_cmp_gt_i16_sdwa s[0:1], v14, v2 src0_sel:BYTE_0 src1_sel:DWORD
	s_and_b64 vcc, exec, s[0:1]
	s_cbranch_vccz .LBB8_284
; %bb.276:
	v_mov_b32_e32 v2, 28
	v_cmp_gt_i16_sdwa s[0:1], v14, v2 src0_sel:BYTE_0 src1_sel:DWORD
	s_and_b64 vcc, exec, s[0:1]
	s_cbranch_vccz .LBB8_286
	;; [unrolled: 5-line block ×4, first 2 shown]
; %bb.279:
	v_mov_b32_e32 v2, 46
	v_cmp_eq_u16_sdwa s[20:21], v14, v2 src0_sel:BYTE_0 src1_sel:DWORD
	s_mov_b64 s[24:25], 0
	s_mov_b64 s[0:1], -1
	s_and_b64 vcc, exec, s[20:21]
	s_mov_b64 s[20:21], 0
	s_cbranch_vccz .LBB8_298
; %bb.280:
	v_cvt_f32_f64_e32 v2, v[0:1]
	v_bfe_u32 v3, v2, 16, 1
	s_movk_i32 s0, 0x7fff
	v_add3_u32 v3, v2, v3, s0
	v_lshrrev_b32_e32 v3, 16, v3
	v_mov_b32_e32 v6, 0x7fc0
	v_cmp_o_f32_e32 vcc, v2, v2
	v_cndmask_b32_e32 v2, v6, v3, vcc
	global_store_dword v[4:5], v2, off
	s_mov_b64 s[20:21], -1
	s_mov_b64 s[0:1], 0
	s_branch .LBB8_298
.LBB8_281:
	s_mov_b64 s[20:21], -1
	s_mov_b64 s[0:1], 0
	s_mov_b64 s[18:19], s[14:15]
                                        ; implicit-def: $vgpr2_vgpr3
	s_branch .LBB8_435
.LBB8_282:
	s_mov_b64 s[24:25], -1
	s_mov_b64 s[20:21], 0
	s_mov_b64 s[0:1], s[6:7]
	s_branch .LBB8_367
.LBB8_283:
	s_mov_b64 s[20:21], -1
	s_mov_b64 s[0:1], 0
	s_mov_b64 s[18:19], s[14:15]
                                        ; implicit-def: $vgpr2_vgpr3
	s_branch .LBB8_416
.LBB8_284:
	s_mov_b64 s[24:25], -1
	s_mov_b64 s[20:21], 0
	s_mov_b64 s[0:1], s[6:7]
	s_branch .LBB8_325
.LBB8_285:
	s_mov_b64 s[20:21], -1
	s_mov_b64 s[0:1], 0
	s_mov_b64 s[18:19], s[14:15]
                                        ; implicit-def: $vgpr2_vgpr3
	s_branch .LBB8_411
.LBB8_286:
	s_mov_b64 s[24:25], -1
	s_mov_b64 s[20:21], 0
	s_mov_b64 s[0:1], s[6:7]
	s_branch .LBB8_308
.LBB8_287:
	s_or_saveexec_b64 s[22:23], s[22:23]
                                        ; implicit-def: $sgpr24
	s_xor_b64 exec, exec, s[22:23]
	s_cbranch_execz .LBB8_59
.LBB8_288:
	s_mov_b32 s24, 0x46000000
	v_add_f32_e64 v3, |v2|, s24
	v_and_b32_e32 v3, 0xff, v3
	v_cmp_ne_u32_e32 vcc, 0, v3
	s_andn2_b64 s[18:19], s[18:19], exec
	s_and_b64 s[26:27], vcc, exec
	s_mov_b32 s24, 0
	s_or_b64 s[18:19], s[18:19], s[26:27]
	s_or_b64 exec, exec, s[22:23]
	v_mov_b32_e32 v6, s24
	s_and_saveexec_b64 s[22:23], s[18:19]
	s_cbranch_execnz .LBB8_60
	s_branch .LBB8_61
.LBB8_289:
	s_mov_b64 s[20:21], -1
	s_mov_b64 s[0:1], 0
	s_mov_b64 s[18:19], s[14:15]
                                        ; implicit-def: $vgpr2_vgpr3
	s_branch .LBB8_294
.LBB8_290:
	s_mov_b64 s[24:25], -1
	s_mov_b64 s[20:21], 0
	s_mov_b64 s[0:1], s[6:7]
	s_branch .LBB8_304
.LBB8_291:
	s_or_saveexec_b64 s[22:23], s[22:23]
                                        ; implicit-def: $sgpr24
	s_xor_b64 exec, exec, s[22:23]
	s_cbranch_execz .LBB8_72
.LBB8_292:
	s_mov_b32 s24, 0x42800000
	v_add_f32_e64 v3, |v2|, s24
	v_and_b32_e32 v3, 0xff, v3
	v_cmp_ne_u32_e32 vcc, 0, v3
	s_andn2_b64 s[18:19], s[18:19], exec
	s_and_b64 s[26:27], vcc, exec
	s_mov_b32 s24, 0
	s_or_b64 s[18:19], s[18:19], s[26:27]
	s_or_b64 exec, exec, s[22:23]
	v_mov_b32_e32 v6, s24
	s_and_saveexec_b64 s[22:23], s[18:19]
	s_cbranch_execnz .LBB8_73
	s_branch .LBB8_74
.LBB8_293:
	s_mov_b64 s[18:19], -1
                                        ; implicit-def: $vgpr2_vgpr3
	s_mov_b64 s[0:1], 0
.LBB8_294:
	s_and_b64 vcc, exec, s[20:21]
	s_cbranch_vccz .LBB8_410
; %bb.295:
	v_cmp_eq_u16_e32 vcc, 44, v11
	s_cbranch_vccz .LBB8_409
; %bb.296:
	global_load_ubyte v4, v[0:1], off
	s_movk_i32 s18, 0xff
	v_bfrev_b32_e32 v5, 4
	v_mov_b32_e32 v6, 0x7ff80000
	v_bfrev_b32_e32 v7, 28
	s_mov_b64 s[0:1], -1
	s_waitcnt vmcnt(0)
	v_lshlrev_b32_e32 v2, 23, v4
	v_cvt_f64_f32_e32 v[2:3], v2
	v_cmp_ne_u32_e32 vcc, s18, v4
	v_cndmask_b32_e32 v2, v5, v2, vcc
	v_cndmask_b32_e32 v3, v6, v3, vcc
	v_cmp_ne_u32_e32 vcc, 0, v4
	v_cndmask_b32_e32 v3, v7, v3, vcc
	v_cndmask_b32_e32 v2, 0, v2, vcc
	s_mov_b64 s[18:19], 0
	s_branch .LBB8_410
.LBB8_297:
	s_mov_b64 s[24:25], -1
	s_mov_b64 s[20:21], 0
	s_mov_b64 s[0:1], s[6:7]
.LBB8_298:
	s_and_b64 vcc, exec, s[24:25]
	s_cbranch_vccz .LBB8_303
; %bb.299:
	v_mov_b32_e32 v2, 44
	v_cmp_eq_u16_sdwa s[24:25], v14, v2 src0_sel:BYTE_0 src1_sel:DWORD
	s_mov_b64 s[0:1], -1
	s_and_b64 vcc, exec, s[24:25]
	s_cbranch_vccz .LBB8_303
; %bb.300:
	v_cvt_f32_f64_e32 v2, v[0:1]
	v_bfe_u32 v3, v2, 23, 8
	s_movk_i32 s0, 0xff
	v_cmp_ne_u32_e32 vcc, s0, v3
	v_mov_b32_e32 v6, 0xff
	s_and_saveexec_b64 s[20:21], vcc
; %bb.301:
	s_mov_b32 s0, 0x3fffff
	v_lshrrev_b32_e32 v6, 23, v2
	v_and_b32_e32 v7, 0x400000, v2
	v_and_or_b32 v2, v2, s0, v3
	v_cmp_ne_u32_e32 vcc, 0, v7
	v_cmp_ne_u32_e64 s[0:1], 0, v2
	s_and_b64 s[0:1], vcc, s[0:1]
	v_cndmask_b32_e64 v2, 0, 1, s[0:1]
	v_add_u32_e32 v6, v6, v2
; %bb.302:
	s_or_b64 exec, exec, s[20:21]
	s_mov_b64 s[20:21], -1
	s_mov_b64 s[0:1], 0
	global_store_byte v[4:5], v6, off
.LBB8_303:
	s_mov_b64 s[24:25], 0
.LBB8_304:
	s_and_b64 vcc, exec, s[24:25]
	s_cbranch_vccz .LBB8_307
; %bb.305:
	v_mov_b32_e32 v2, 29
	v_cmp_eq_u16_sdwa s[24:25], v14, v2 src0_sel:BYTE_0 src1_sel:DWORD
	s_mov_b64 s[0:1], -1
	s_and_b64 vcc, exec, s[24:25]
	s_cbranch_vccz .LBB8_307
; %bb.306:
	v_trunc_f64_e32 v[2:3], v[0:1]
	s_movk_i32 s0, 0xffe0
	v_ldexp_f64 v[6:7], v[2:3], s0
	v_floor_f64_e32 v[6:7], v[6:7]
	v_fmac_f64_e32 v[2:3], 0xc1f00000, v[6:7]
	v_cvt_u32_f64_e32 v9, v[6:7]
	v_cvt_u32_f64_e32 v8, v[2:3]
	global_store_dwordx2 v[4:5], v[8:9], off
	s_mov_b64 s[20:21], -1
	s_mov_b64 s[0:1], 0
.LBB8_307:
	s_mov_b64 s[24:25], 0
.LBB8_308:
	s_and_b64 vcc, exec, s[24:25]
	s_cbranch_vccz .LBB8_324
; %bb.309:
	v_mov_b32_e32 v2, 27
	v_cmp_lt_i16_sdwa s[24:25], v14, v2 src0_sel:BYTE_0 src1_sel:DWORD
	s_mov_b64 s[20:21], -1
	s_and_b64 vcc, exec, s[24:25]
	s_cbranch_vccnz .LBB8_315
; %bb.310:
	v_cmp_gt_i16_sdwa s[24:25], v14, v2 src0_sel:BYTE_0 src1_sel:DWORD
	s_and_b64 vcc, exec, s[24:25]
	v_cvt_u32_f64_e32 v2, v[0:1]
	s_cbranch_vccz .LBB8_312
; %bb.311:
	s_mov_b64 s[20:21], 0
	global_store_dword v[4:5], v2, off
.LBB8_312:
	s_andn2_b64 vcc, exec, s[20:21]
	s_cbranch_vccnz .LBB8_314
; %bb.313:
	global_store_short v[4:5], v2, off
.LBB8_314:
	s_mov_b64 s[20:21], 0
.LBB8_315:
	s_andn2_b64 vcc, exec, s[20:21]
	s_cbranch_vccnz .LBB8_323
; %bb.316:
	v_cvt_f32_f64_e32 v2, v[0:1]
	v_and_b32_e32 v3, 0x7fffffff, v2
	s_mov_b32 s20, 0x43800000
	v_cmp_gt_u32_e32 vcc, s20, v3
	v_mov_b32_e32 v6, 0x80
	s_and_saveexec_b64 s[20:21], vcc
	s_cbranch_execz .LBB8_322
; %bb.317:
	s_mov_b32 s24, 0x3bffffff
	v_cmp_lt_u32_e32 vcc, s24, v3
	s_mov_b64 s[24:25], 0
                                        ; implicit-def: $vgpr3
	s_and_saveexec_b64 s[26:27], vcc
	s_xor_b64 s[26:27], exec, s[26:27]
	s_cbranch_execz .LBB8_534
; %bb.318:
	v_bfe_u32 v3, v2, 20, 1
	s_mov_b32 s28, 0x487ffff
	v_add3_u32 v3, v2, v3, s28
	s_mov_b64 s[24:25], exec
	v_lshrrev_b32_e32 v3, 20, v3
	s_or_saveexec_b64 s[26:27], s[26:27]
                                        ; implicit-def: $sgpr28
	s_xor_b64 exec, exec, s[26:27]
	s_cbranch_execnz .LBB8_535
.LBB8_319:
	s_or_b64 exec, exec, s[26:27]
	v_mov_b32_e32 v6, s28
	s_and_saveexec_b64 s[26:27], s[24:25]
.LBB8_320:
	v_lshrrev_b32_e32 v2, 24, v2
	s_movk_i32 s24, 0x80
	v_and_or_b32 v6, v2, s24, v3
.LBB8_321:
	s_or_b64 exec, exec, s[26:27]
.LBB8_322:
	s_or_b64 exec, exec, s[20:21]
	global_store_byte v[4:5], v6, off
.LBB8_323:
	s_mov_b64 s[20:21], -1
.LBB8_324:
	s_mov_b64 s[24:25], 0
.LBB8_325:
	s_and_b64 vcc, exec, s[24:25]
	s_cbranch_vccz .LBB8_366
; %bb.326:
	v_mov_b32_e32 v2, 22
	v_cmp_gt_i16_sdwa s[26:27], v14, v2 src0_sel:BYTE_0 src1_sel:DWORD
	s_mov_b64 s[24:25], -1
	s_and_b64 vcc, exec, s[26:27]
	s_cbranch_vccz .LBB8_358
; %bb.327:
	v_mov_b32_e32 v2, 24
	v_cmp_lt_i16_sdwa s[24:25], v14, v2 src0_sel:BYTE_0 src1_sel:DWORD
	s_mov_b64 s[20:21], -1
	s_and_b64 vcc, exec, s[24:25]
	s_cbranch_vccnz .LBB8_347
; %bb.328:
	v_cmp_gt_i16_sdwa s[24:25], v14, v2 src0_sel:BYTE_0 src1_sel:DWORD
	s_and_b64 vcc, exec, s[24:25]
	s_cbranch_vccz .LBB8_336
; %bb.329:
	v_cvt_f32_f64_e32 v2, v[0:1]
	v_and_b32_e32 v3, 0x7fffffff, v2
	s_mov_b32 s20, 0x47800000
	v_cmp_gt_u32_e32 vcc, s20, v3
	v_mov_b32_e32 v6, 0x80
	s_and_saveexec_b64 s[20:21], vcc
	s_cbranch_execz .LBB8_335
; %bb.330:
	s_mov_b32 s24, 0x37ffffff
	v_cmp_lt_u32_e32 vcc, s24, v3
	s_mov_b64 s[24:25], 0
                                        ; implicit-def: $vgpr3
	s_and_saveexec_b64 s[26:27], vcc
	s_xor_b64 s[26:27], exec, s[26:27]
	s_cbranch_execz .LBB8_537
; %bb.331:
	v_bfe_u32 v3, v2, 21, 1
	s_mov_b32 s28, 0x88fffff
	v_add3_u32 v3, v2, v3, s28
	s_mov_b64 s[24:25], exec
	v_lshrrev_b32_e32 v3, 21, v3
	s_or_saveexec_b64 s[26:27], s[26:27]
                                        ; implicit-def: $sgpr28
	s_xor_b64 exec, exec, s[26:27]
	s_cbranch_execnz .LBB8_538
.LBB8_332:
	s_or_b64 exec, exec, s[26:27]
	v_mov_b32_e32 v6, s28
	s_and_saveexec_b64 s[26:27], s[24:25]
.LBB8_333:
	v_lshrrev_b32_e32 v2, 24, v2
	s_movk_i32 s24, 0x80
	v_and_or_b32 v6, v2, s24, v3
.LBB8_334:
	s_or_b64 exec, exec, s[26:27]
.LBB8_335:
	s_or_b64 exec, exec, s[20:21]
	s_mov_b64 s[20:21], 0
	global_store_byte v[4:5], v6, off
.LBB8_336:
	s_and_b64 vcc, exec, s[20:21]
	s_cbranch_vccz .LBB8_346
; %bb.337:
	v_cvt_f32_f64_e32 v2, v[0:1]
	v_and_b32_e32 v6, 0x7fffffff, v2
	s_mov_b32 s20, 0x43f00000
	v_cmp_gt_u32_e32 vcc, s20, v6
                                        ; implicit-def: $vgpr3
	s_and_saveexec_b64 s[20:21], vcc
	s_xor_b64 s[20:21], exec, s[20:21]
	s_cbranch_execz .LBB8_343
; %bb.338:
	s_mov_b32 s24, 0x3c7fffff
	v_cmp_lt_u32_e32 vcc, s24, v6
                                        ; implicit-def: $vgpr3
	s_and_saveexec_b64 s[24:25], vcc
	s_xor_b64 s[24:25], exec, s[24:25]
; %bb.339:
	v_bfe_u32 v3, v2, 20, 1
	s_mov_b32 s26, 0x407ffff
	v_add3_u32 v3, v2, v3, s26
	v_lshrrev_b32_e32 v6, 20, v3
	v_and_b32_e32 v3, 0xff00000, v3
	s_mov_b32 s26, 0x7f00000
	v_mov_b32_e32 v7, 0x7e
	v_cmp_ne_u32_e32 vcc, s26, v3
	v_cndmask_b32_e32 v3, v7, v6, vcc
; %bb.340:
	s_andn2_saveexec_b64 s[24:25], s[24:25]
; %bb.341:
	s_mov_b32 s26, 0x46800000
	v_add_f32_e64 v3, |v2|, s26
; %bb.342:
	s_or_b64 exec, exec, s[24:25]
                                        ; implicit-def: $vgpr6
.LBB8_343:
	s_andn2_saveexec_b64 s[20:21], s[20:21]
; %bb.344:
	s_mov_b32 s24, 0x7f800000
	v_mov_b32_e32 v3, 0x7e
	v_mov_b32_e32 v7, 0x7f
	v_cmp_lt_u32_e32 vcc, s24, v6
	v_cndmask_b32_e32 v3, v3, v7, vcc
; %bb.345:
	s_or_b64 exec, exec, s[20:21]
	v_lshrrev_b32_e32 v2, 24, v2
	s_movk_i32 s20, 0x80
	v_and_or_b32 v2, v2, s20, v3
	global_store_byte v[4:5], v2, off
.LBB8_346:
	s_mov_b64 s[20:21], 0
.LBB8_347:
	s_andn2_b64 vcc, exec, s[20:21]
	s_cbranch_vccnz .LBB8_357
; %bb.348:
	v_cvt_f32_f64_e32 v2, v[0:1]
	v_and_b32_e32 v6, 0x7fffffff, v2
	s_mov_b32 s20, 0x47800000
	v_cmp_gt_u32_e32 vcc, s20, v6
                                        ; implicit-def: $vgpr3
	s_and_saveexec_b64 s[20:21], vcc
	s_xor_b64 s[20:21], exec, s[20:21]
	s_cbranch_execz .LBB8_354
; %bb.349:
	s_mov_b32 s24, 0x387fffff
	v_cmp_lt_u32_e32 vcc, s24, v6
                                        ; implicit-def: $vgpr3
	s_and_saveexec_b64 s[24:25], vcc
	s_xor_b64 s[24:25], exec, s[24:25]
; %bb.350:
	v_bfe_u32 v3, v2, 21, 1
	s_mov_b32 s26, 0x80fffff
	v_add3_u32 v3, v2, v3, s26
	v_lshrrev_b32_e32 v3, 21, v3
; %bb.351:
	s_andn2_saveexec_b64 s[24:25], s[24:25]
; %bb.352:
	s_mov_b32 s26, 0x43000000
	v_add_f32_e64 v3, |v2|, s26
; %bb.353:
	s_or_b64 exec, exec, s[24:25]
                                        ; implicit-def: $vgpr6
.LBB8_354:
	s_andn2_saveexec_b64 s[20:21], s[20:21]
; %bb.355:
	s_mov_b32 s24, 0x7f800000
	v_mov_b32_e32 v3, 0x7c
	v_mov_b32_e32 v7, 0x7f
	v_cmp_lt_u32_e32 vcc, s24, v6
	v_cndmask_b32_e32 v3, v3, v7, vcc
; %bb.356:
	s_or_b64 exec, exec, s[20:21]
	v_lshrrev_b32_e32 v2, 24, v2
	s_movk_i32 s20, 0x80
	v_and_or_b32 v2, v2, s20, v3
	global_store_byte v[4:5], v2, off
.LBB8_357:
	s_mov_b64 s[24:25], 0
	s_mov_b64 s[20:21], -1
.LBB8_358:
	s_andn2_b64 vcc, exec, s[24:25]
	s_cbranch_vccnz .LBB8_366
; %bb.359:
	v_mov_b32_e32 v2, 14
	v_cmp_gt_i16_sdwa s[26:27], v14, v2 src0_sel:BYTE_0 src1_sel:DWORD
	s_mov_b64 s[24:25], -1
	s_and_b64 vcc, exec, s[26:27]
	s_cbranch_vccz .LBB8_363
; %bb.360:
	v_mov_b32_e32 v2, 15
	v_cmp_eq_u16_sdwa s[24:25], v14, v2 src0_sel:BYTE_0 src1_sel:DWORD
	s_mov_b64 s[0:1], -1
	s_and_b64 vcc, exec, s[24:25]
	s_cbranch_vccz .LBB8_362
; %bb.361:
	v_cvt_f32_f64_e32 v2, v[0:1]
	v_bfe_u32 v3, v2, 16, 1
	s_movk_i32 s0, 0x7fff
	v_add3_u32 v3, v2, v3, s0
	v_lshrrev_b32_e32 v3, 16, v3
	v_mov_b32_e32 v6, 0x7fc0
	v_cmp_o_f32_e32 vcc, v2, v2
	v_cndmask_b32_e32 v2, v6, v3, vcc
	global_store_short v[4:5], v2, off
	s_mov_b64 s[20:21], -1
	s_mov_b64 s[0:1], 0
.LBB8_362:
	s_mov_b64 s[24:25], 0
.LBB8_363:
	s_and_b64 vcc, exec, s[24:25]
	s_cbranch_vccz .LBB8_366
; %bb.364:
	v_mov_b32_e32 v2, 11
	v_cmp_eq_u16_sdwa s[24:25], v14, v2 src0_sel:BYTE_0 src1_sel:DWORD
	s_mov_b64 s[0:1], -1
	s_and_b64 vcc, exec, s[24:25]
	s_cbranch_vccz .LBB8_366
; %bb.365:
	v_cmp_neq_f64_e32 vcc, 0, v[0:1]
	s_mov_b64 s[0:1], 0
	v_cndmask_b32_e64 v2, 0, 1, vcc
	s_mov_b64 s[20:21], -1
	global_store_byte v[4:5], v2, off
.LBB8_366:
	s_mov_b64 s[24:25], 0
.LBB8_367:
	s_and_b64 vcc, exec, s[24:25]
	s_cbranch_vccz .LBB8_406
; %bb.368:
	v_mov_b32_e32 v2, 5
	v_cmp_lt_i16_sdwa s[24:25], v14, v2 src0_sel:BYTE_0 src1_sel:DWORD
	s_mov_b64 s[20:21], -1
	s_and_b64 vcc, exec, s[24:25]
	s_cbranch_vccnz .LBB8_389
; %bb.369:
	v_mov_b32_e32 v2, 8
	v_cmp_lt_i16_sdwa s[24:25], v14, v2 src0_sel:BYTE_0 src1_sel:DWORD
	s_and_b64 vcc, exec, s[24:25]
	s_cbranch_vccnz .LBB8_379
; %bb.370:
	v_mov_b32_e32 v2, 9
	v_cmp_lt_i16_sdwa s[24:25], v14, v2 src0_sel:BYTE_0 src1_sel:DWORD
	s_and_b64 vcc, exec, s[24:25]
	s_cbranch_vccnz .LBB8_376
; %bb.371:
	v_cmp_gt_i16_sdwa s[24:25], v14, v2 src0_sel:BYTE_0 src1_sel:DWORD
	s_and_b64 vcc, exec, s[24:25]
	s_cbranch_vccz .LBB8_373
; %bb.372:
	v_mov_b32_e32 v2, 0
	v_mov_b32_e32 v3, v2
	s_mov_b64 s[20:21], 0
	global_store_dwordx4 v[4:5], v[0:3], off
.LBB8_373:
	s_andn2_b64 vcc, exec, s[20:21]
	s_cbranch_vccnz .LBB8_375
; %bb.374:
	v_cvt_f32_f64_e32 v2, v[0:1]
	v_mov_b32_e32 v3, 0
	global_store_dwordx2 v[4:5], v[2:3], off
.LBB8_375:
	s_mov_b64 s[20:21], 0
.LBB8_376:
	s_andn2_b64 vcc, exec, s[20:21]
	s_cbranch_vccnz .LBB8_378
; %bb.377:
	v_cvt_f32_f64_e32 v2, v[0:1]
	v_cvt_f16_f32_e32 v2, v2
	global_store_dword v[4:5], v2, off
.LBB8_378:
	s_mov_b64 s[20:21], 0
.LBB8_379:
	s_andn2_b64 vcc, exec, s[20:21]
	s_cbranch_vccnz .LBB8_388
; %bb.380:
	v_mov_b32_e32 v2, 6
	v_cmp_lt_i16_sdwa s[24:25], v14, v2 src0_sel:BYTE_0 src1_sel:DWORD
	s_mov_b64 s[20:21], -1
	s_and_b64 vcc, exec, s[24:25]
	s_cbranch_vccnz .LBB8_386
; %bb.381:
	v_cmp_gt_i16_sdwa s[24:25], v14, v2 src0_sel:BYTE_0 src1_sel:DWORD
	s_and_b64 vcc, exec, s[24:25]
	s_cbranch_vccz .LBB8_383
; %bb.382:
	s_mov_b64 s[20:21], 0
	global_store_dwordx2 v[4:5], v[0:1], off
.LBB8_383:
	s_andn2_b64 vcc, exec, s[20:21]
	s_cbranch_vccnz .LBB8_385
; %bb.384:
	v_cvt_f32_f64_e32 v2, v[0:1]
	global_store_dword v[4:5], v2, off
.LBB8_385:
	s_mov_b64 s[20:21], 0
.LBB8_386:
	s_andn2_b64 vcc, exec, s[20:21]
	s_cbranch_vccnz .LBB8_388
; %bb.387:
	v_cvt_f32_f64_e32 v2, v[0:1]
	v_cvt_f16_f32_e32 v2, v2
	global_store_short v[4:5], v2, off
.LBB8_388:
	s_mov_b64 s[20:21], 0
.LBB8_389:
	s_andn2_b64 vcc, exec, s[20:21]
	s_cbranch_vccnz .LBB8_405
; %bb.390:
	v_mov_b32_e32 v2, 2
	v_cmp_lt_i16_sdwa s[24:25], v14, v2 src0_sel:BYTE_0 src1_sel:DWORD
	s_mov_b64 s[20:21], -1
	s_and_b64 vcc, exec, s[24:25]
	s_cbranch_vccnz .LBB8_400
; %bb.391:
	v_mov_b32_e32 v2, 3
	v_cmp_lt_i16_sdwa s[24:25], v14, v2 src0_sel:BYTE_0 src1_sel:DWORD
	s_and_b64 vcc, exec, s[24:25]
	s_cbranch_vccnz .LBB8_397
; %bb.392:
	v_cmp_gt_i16_sdwa s[24:25], v14, v2 src0_sel:BYTE_0 src1_sel:DWORD
	s_and_b64 vcc, exec, s[24:25]
	s_cbranch_vccz .LBB8_394
; %bb.393:
	v_trunc_f64_e32 v[2:3], v[0:1]
	s_movk_i32 s20, 0xffe0
	v_ldexp_f64 v[6:7], v[2:3], s20
	v_floor_f64_e32 v[6:7], v[6:7]
	v_fmac_f64_e32 v[2:3], 0xc1f00000, v[6:7]
	v_cvt_i32_f64_e32 v9, v[6:7]
	v_cvt_u32_f64_e32 v8, v[2:3]
	s_mov_b64 s[20:21], 0
	global_store_dwordx2 v[4:5], v[8:9], off
.LBB8_394:
	s_andn2_b64 vcc, exec, s[20:21]
	s_cbranch_vccnz .LBB8_396
; %bb.395:
	v_cvt_i32_f64_e32 v2, v[0:1]
	global_store_dword v[4:5], v2, off
.LBB8_396:
	s_mov_b64 s[20:21], 0
.LBB8_397:
	s_andn2_b64 vcc, exec, s[20:21]
	s_cbranch_vccnz .LBB8_399
; %bb.398:
	v_cvt_i32_f64_e32 v2, v[0:1]
	global_store_short v[4:5], v2, off
.LBB8_399:
	s_mov_b64 s[20:21], 0
.LBB8_400:
	s_andn2_b64 vcc, exec, s[20:21]
	s_cbranch_vccnz .LBB8_405
; %bb.401:
	v_mov_b32_e32 v2, 0
	v_cmp_gt_i16_sdwa s[24:25], v14, v2 src0_sel:BYTE_0 src1_sel:DWORD
	s_mov_b64 s[20:21], -1
	s_and_b64 vcc, exec, s[24:25]
	s_cbranch_vccz .LBB8_403
; %bb.402:
	v_cvt_i32_f64_e32 v2, v[0:1]
	s_mov_b64 s[20:21], 0
	global_store_byte v[4:5], v2, off
.LBB8_403:
	s_andn2_b64 vcc, exec, s[20:21]
	s_cbranch_vccnz .LBB8_405
; %bb.404:
	v_trunc_f64_e32 v[0:1], v[0:1]
	s_movk_i32 s20, 0xffe0
	v_ldexp_f64 v[2:3], v[0:1], s20
	v_floor_f64_e32 v[2:3], v[2:3]
	v_fmac_f64_e32 v[0:1], 0xc1f00000, v[2:3]
	v_cvt_u32_f64_e32 v0, v[0:1]
	global_store_byte v[4:5], v0, off
.LBB8_405:
	s_mov_b64 s[20:21], -1
.LBB8_406:
	s_andn2_b64 vcc, exec, s[20:21]
	s_cbranch_vccnz .LBB8_408
; %bb.407:
	v_add_u32_e32 v10, 0x80, v10
	s_mov_b64 s[24:25], -1
	s_branch .LBB8_520
.LBB8_408:
	s_mov_b64 s[24:25], 0
                                        ; implicit-def: $vgpr10
	s_branch .LBB8_520
.LBB8_409:
	s_mov_b64 s[18:19], -1
                                        ; implicit-def: $vgpr2_vgpr3
.LBB8_410:
	s_mov_b64 s[20:21], 0
.LBB8_411:
	s_and_b64 vcc, exec, s[20:21]
	s_cbranch_vccz .LBB8_415
; %bb.412:
	v_cmp_eq_u16_e32 vcc, 29, v11
	s_cbranch_vccz .LBB8_414
; %bb.413:
	global_load_dwordx2 v[2:3], v[0:1], off
	s_mov_b64 s[0:1], -1
	s_mov_b64 s[18:19], 0
	s_mov_b64 s[20:21], 0
	s_waitcnt vmcnt(0)
	v_cvt_f64_u32_e32 v[4:5], v3
	v_cvt_f64_u32_e32 v[2:3], v2
	v_ldexp_f64 v[4:5], v[4:5], 32
	v_add_f64 v[2:3], v[4:5], v[2:3]
	s_branch .LBB8_416
.LBB8_414:
	s_mov_b64 s[18:19], -1
                                        ; implicit-def: $vgpr2_vgpr3
.LBB8_415:
	s_mov_b64 s[20:21], 0
.LBB8_416:
	s_and_b64 vcc, exec, s[20:21]
	s_cbranch_vccz .LBB8_434
; %bb.417:
	v_cmp_gt_i16_e32 vcc, 27, v11
	s_cbranch_vccnz .LBB8_420
; %bb.418:
	v_cmp_lt_i16_e32 vcc, 27, v11
	s_cbranch_vccz .LBB8_421
; %bb.419:
	global_load_dword v2, v[0:1], off
	s_mov_b64 s[0:1], 0
	s_waitcnt vmcnt(0)
	v_cvt_f64_u32_e32 v[2:3], v2
	s_branch .LBB8_422
.LBB8_420:
	s_mov_b64 s[0:1], -1
                                        ; implicit-def: $vgpr2_vgpr3
	s_branch .LBB8_425
.LBB8_421:
	s_mov_b64 s[0:1], -1
                                        ; implicit-def: $vgpr2_vgpr3
.LBB8_422:
	s_andn2_b64 vcc, exec, s[0:1]
	s_cbranch_vccnz .LBB8_424
; %bb.423:
	global_load_ushort v2, v[0:1], off
	s_waitcnt vmcnt(0)
	v_cvt_f64_u32_e32 v[2:3], v2
.LBB8_424:
	s_mov_b64 s[0:1], 0
.LBB8_425:
	s_andn2_b64 vcc, exec, s[0:1]
	s_cbranch_vccnz .LBB8_433
; %bb.426:
	global_load_ubyte v4, v[0:1], off
	s_movk_i32 s0, 0x7f
                                        ; implicit-def: $sgpr20_sgpr21
	s_waitcnt vmcnt(0)
	v_cmp_lt_i16_e32 vcc, s0, v4
	s_mov_b64 s[0:1], 0
	s_and_saveexec_b64 s[24:25], vcc
	s_xor_b64 s[24:25], exec, s[24:25]
	s_cbranch_execz .LBB8_447
; %bb.427:
	s_movk_i32 s0, 0x80
	v_cmp_eq_u16_e32 vcc, s0, v4
	s_mov_b64 s[26:27], -1
                                        ; implicit-def: $sgpr20_sgpr21
	s_and_saveexec_b64 s[0:1], vcc
; %bb.428:
	s_mov_b32 s21, 0x7ff80000
	s_brev_b32 s20, 4
	s_xor_b64 s[26:27], exec, -1
; %bb.429:
	s_or_b64 exec, exec, s[0:1]
	s_and_b64 s[0:1], s[26:27], exec
	s_or_saveexec_b64 s[24:25], s[24:25]
	v_pk_mov_b32 v[2:3], s[20:21], s[20:21] op_sel:[0,1]
	s_xor_b64 exec, exec, s[24:25]
	s_cbranch_execnz .LBB8_448
.LBB8_430:
	s_or_b64 exec, exec, s[24:25]
	s_and_saveexec_b64 s[20:21], s[0:1]
	s_cbranch_execz .LBB8_432
.LBB8_431:
	v_and_b32_e32 v3, 0xffff, v4
	v_lshlrev_b32_e32 v2, 24, v4
	v_and_b32_e32 v4, 7, v3
	v_ffbh_u32_e32 v6, v4
	v_min_u32_e32 v6, 32, v6
	v_subrev_u32_e32 v7, 28, v6
	v_bfe_u32 v5, v3, 3, 4
	v_lshlrev_b32_e32 v3, v7, v3
	v_sub_u32_e32 v6, 29, v6
	v_and_b32_e32 v3, 7, v3
	v_cmp_eq_u32_e32 vcc, 0, v5
	v_cndmask_b32_e32 v5, v5, v6, vcc
	v_cndmask_b32_e32 v3, v4, v3, vcc
	v_mov_b32_e32 v4, 0x3b800000
	v_lshlrev_b32_e32 v3, 20, v3
	v_and_b32_e32 v2, 0x80000000, v2
	v_lshl_add_u32 v4, v5, 23, v4
	v_or3_b32 v2, v2, v4, v3
	v_cvt_f64_f32_e32 v[2:3], v2
.LBB8_432:
	s_or_b64 exec, exec, s[20:21]
.LBB8_433:
	s_mov_b64 s[0:1], -1
.LBB8_434:
	s_mov_b64 s[20:21], 0
.LBB8_435:
	s_and_b64 vcc, exec, s[20:21]
	s_cbranch_vccz .LBB8_470
; %bb.436:
	v_cmp_lt_i16_e32 vcc, 22, v11
	s_cbranch_vccz .LBB8_446
; %bb.437:
	v_cmp_gt_i16_e32 vcc, 24, v11
	s_cbranch_vccnz .LBB8_449
; %bb.438:
	v_cmp_lt_i16_e32 vcc, 24, v11
	s_cbranch_vccz .LBB8_450
; %bb.439:
	global_load_ubyte v4, v[0:1], off
	s_movk_i32 s0, 0x7f
                                        ; implicit-def: $sgpr20_sgpr21
	s_waitcnt vmcnt(0)
	v_cmp_lt_i16_e32 vcc, s0, v4
	s_mov_b64 s[0:1], 0
	s_and_saveexec_b64 s[24:25], vcc
	s_xor_b64 s[24:25], exec, s[24:25]
	s_cbranch_execz .LBB8_462
; %bb.440:
	s_movk_i32 s0, 0x80
	v_cmp_eq_u16_e32 vcc, s0, v4
	s_mov_b64 s[26:27], -1
                                        ; implicit-def: $sgpr20_sgpr21
	s_and_saveexec_b64 s[0:1], vcc
; %bb.441:
	s_mov_b32 s21, 0x7ff80000
	s_brev_b32 s20, 4
	s_xor_b64 s[26:27], exec, -1
; %bb.442:
	s_or_b64 exec, exec, s[0:1]
	s_and_b64 s[0:1], s[26:27], exec
	s_or_saveexec_b64 s[24:25], s[24:25]
	v_pk_mov_b32 v[2:3], s[20:21], s[20:21] op_sel:[0,1]
	s_xor_b64 exec, exec, s[24:25]
	s_cbranch_execnz .LBB8_463
.LBB8_443:
	s_or_b64 exec, exec, s[24:25]
	s_and_saveexec_b64 s[20:21], s[0:1]
	s_cbranch_execz .LBB8_445
.LBB8_444:
	v_and_b32_e32 v3, 0xffff, v4
	v_lshlrev_b32_e32 v2, 24, v4
	v_and_b32_e32 v4, 3, v3
	v_ffbh_u32_e32 v6, v4
	v_min_u32_e32 v6, 32, v6
	v_subrev_u32_e32 v7, 29, v6
	v_bfe_u32 v5, v3, 2, 5
	v_lshlrev_b32_e32 v3, v7, v3
	v_sub_u32_e32 v6, 30, v6
	v_and_b32_e32 v3, 3, v3
	v_cmp_eq_u32_e32 vcc, 0, v5
	v_cndmask_b32_e32 v5, v5, v6, vcc
	v_cndmask_b32_e32 v3, v4, v3, vcc
	v_mov_b32_e32 v4, 0x37800000
	v_lshlrev_b32_e32 v3, 21, v3
	v_and_b32_e32 v2, 0x80000000, v2
	v_lshl_add_u32 v4, v5, 23, v4
	v_or3_b32 v2, v2, v4, v3
	v_cvt_f64_f32_e32 v[2:3], v2
.LBB8_445:
	s_or_b64 exec, exec, s[20:21]
	s_mov_b64 s[0:1], 0
	s_branch .LBB8_451
.LBB8_446:
	s_mov_b64 s[20:21], -1
                                        ; implicit-def: $vgpr2_vgpr3
	s_branch .LBB8_457
.LBB8_447:
	s_or_saveexec_b64 s[24:25], s[24:25]
	v_pk_mov_b32 v[2:3], s[20:21], s[20:21] op_sel:[0,1]
	s_xor_b64 exec, exec, s[24:25]
	s_cbranch_execz .LBB8_430
.LBB8_448:
	v_cmp_ne_u16_e32 vcc, 0, v4
	s_andn2_b64 s[0:1], s[0:1], exec
	s_and_b64 s[20:21], vcc, exec
	v_pk_mov_b32 v[2:3], 0, 0
	s_or_b64 s[0:1], s[0:1], s[20:21]
	s_or_b64 exec, exec, s[24:25]
	s_and_saveexec_b64 s[20:21], s[0:1]
	s_cbranch_execnz .LBB8_431
	s_branch .LBB8_432
.LBB8_449:
	s_mov_b64 s[0:1], -1
                                        ; implicit-def: $vgpr2_vgpr3
	s_branch .LBB8_454
.LBB8_450:
	s_mov_b64 s[0:1], -1
                                        ; implicit-def: $vgpr2_vgpr3
.LBB8_451:
	s_and_b64 vcc, exec, s[0:1]
	s_cbranch_vccz .LBB8_453
; %bb.452:
	global_load_ubyte v2, v[0:1], off
	s_mov_b32 s0, 0x7f800000
	s_waitcnt vmcnt(0)
	v_lshlrev_b32_e32 v2, 24, v2
	v_and_b32_e32 v3, 0x7f000000, v2
	v_ffbh_u32_e32 v4, v3
	v_min_u32_e32 v4, 32, v4
	v_sub_u32_e64 v4, v4, 4 clamp
	v_lshlrev_b32_e32 v6, v4, v3
	v_lshlrev_b32_e32 v4, 23, v4
	v_lshrrev_b32_e32 v6, 4, v6
	v_add_u32_e32 v5, 0x1000000, v3
	v_sub_u32_e32 v4, v6, v4
	v_ashrrev_i32_e32 v5, 8, v5
	v_add_u32_e32 v4, 0x3c000000, v4
	v_and_or_b32 v4, v5, s0, v4
	v_cmp_ne_u32_e32 vcc, 0, v3
	v_cndmask_b32_e32 v3, 0, v4, vcc
	s_brev_b32 s0, 1
	v_and_or_b32 v2, v2, s0, v3
	v_cvt_f64_f32_e32 v[2:3], v2
.LBB8_453:
	s_mov_b64 s[0:1], 0
.LBB8_454:
	s_andn2_b64 vcc, exec, s[0:1]
	s_cbranch_vccnz .LBB8_456
; %bb.455:
	global_load_ubyte v2, v[0:1], off
	s_movk_i32 s0, 0x7f00
	s_brev_b32 s1, 16
	s_waitcnt vmcnt(0)
	v_lshlrev_b16_e32 v3, 8, v2
	v_lshlrev_b32_e32 v2, 25, v2
	v_lshrrev_b32_e32 v4, 4, v2
	v_and_or_b32 v5, v3, s0, 0.5
	v_or_b32_e32 v4, 0x70000000, v4
	v_add_f32_e32 v5, -0.5, v5
	v_mul_f32_e32 v4, 0x7800000, v4
	v_cmp_gt_u32_e32 vcc, s1, v2
	v_bfe_i32 v3, v3, 0, 16
	v_cndmask_b32_e32 v2, v4, v5, vcc
	s_brev_b32 s0, 1
	v_and_or_b32 v2, v3, s0, v2
	v_cvt_f64_f32_e32 v[2:3], v2
.LBB8_456:
	s_mov_b64 s[20:21], 0
	s_mov_b64 s[0:1], -1
.LBB8_457:
	s_andn2_b64 vcc, exec, s[20:21]
	s_cbranch_vccnz .LBB8_470
; %bb.458:
	v_cmp_lt_i16_e32 vcc, 14, v11
	s_cbranch_vccz .LBB8_461
; %bb.459:
	v_cmp_eq_u16_e32 vcc, 15, v11
	s_cbranch_vccz .LBB8_464
; %bb.460:
	global_load_ushort v2, v[0:1], off
	s_mov_b64 s[0:1], -1
	s_mov_b64 s[18:19], 0
	s_waitcnt vmcnt(0)
	v_lshlrev_b32_e32 v2, 16, v2
	v_cvt_f64_f32_e32 v[2:3], v2
	s_branch .LBB8_465
.LBB8_461:
	s_mov_b64 s[20:21], -1
                                        ; implicit-def: $vgpr2_vgpr3
	s_branch .LBB8_466
.LBB8_462:
	s_or_saveexec_b64 s[24:25], s[24:25]
	v_pk_mov_b32 v[2:3], s[20:21], s[20:21] op_sel:[0,1]
	s_xor_b64 exec, exec, s[24:25]
	s_cbranch_execz .LBB8_443
.LBB8_463:
	v_cmp_ne_u16_e32 vcc, 0, v4
	s_andn2_b64 s[0:1], s[0:1], exec
	s_and_b64 s[20:21], vcc, exec
	v_pk_mov_b32 v[2:3], 0, 0
	s_or_b64 s[0:1], s[0:1], s[20:21]
	s_or_b64 exec, exec, s[24:25]
	s_and_saveexec_b64 s[20:21], s[0:1]
	s_cbranch_execnz .LBB8_444
	s_branch .LBB8_445
.LBB8_464:
	s_mov_b64 s[18:19], -1
                                        ; implicit-def: $vgpr2_vgpr3
.LBB8_465:
	s_mov_b64 s[20:21], 0
.LBB8_466:
	s_and_b64 vcc, exec, s[20:21]
	s_cbranch_vccz .LBB8_470
; %bb.467:
	v_cmp_eq_u16_e32 vcc, 11, v11
	s_cbranch_vccz .LBB8_469
; %bb.468:
	global_load_ubyte v3, v[0:1], off
	v_mov_b32_e32 v4, 0x3ff00000
	v_mov_b32_e32 v2, 0
	s_mov_b64 s[0:1], -1
	s_mov_b64 s[18:19], 0
	s_waitcnt vmcnt(0)
	v_cmp_ne_u16_e32 vcc, 0, v3
	v_cndmask_b32_e32 v3, 0, v4, vcc
	s_branch .LBB8_470
.LBB8_469:
	s_mov_b64 s[18:19], -1
                                        ; implicit-def: $vgpr2_vgpr3
.LBB8_470:
	s_branch .LBB8_269
.LBB8_471:
	v_cmp_gt_i16_e32 vcc, 5, v11
	s_cbranch_vccnz .LBB8_476
; %bb.472:
	v_cmp_gt_i16_e32 vcc, 8, v11
	s_cbranch_vccnz .LBB8_477
; %bb.473:
	;; [unrolled: 3-line block ×3, first 2 shown]
	v_cmp_lt_i16_e32 vcc, 9, v11
	s_cbranch_vccz .LBB8_479
; %bb.475:
	global_load_dwordx2 v[2:3], v[0:1], off
	s_mov_b64 s[0:1], 0
	s_branch .LBB8_480
.LBB8_476:
	s_mov_b64 s[0:1], -1
                                        ; implicit-def: $vgpr2_vgpr3
	s_branch .LBB8_498
.LBB8_477:
	s_mov_b64 s[0:1], -1
                                        ; implicit-def: $vgpr2_vgpr3
	s_branch .LBB8_486
.LBB8_478:
	s_mov_b64 s[0:1], -1
                                        ; implicit-def: $vgpr2_vgpr3
	s_branch .LBB8_483
.LBB8_479:
	s_mov_b64 s[0:1], -1
                                        ; implicit-def: $vgpr2_vgpr3
.LBB8_480:
	s_andn2_b64 vcc, exec, s[0:1]
	s_cbranch_vccnz .LBB8_482
; %bb.481:
	global_load_dword v2, v[0:1], off
	s_waitcnt vmcnt(0)
	v_cvt_f64_f32_e32 v[2:3], v2
.LBB8_482:
	s_mov_b64 s[0:1], 0
.LBB8_483:
	s_andn2_b64 vcc, exec, s[0:1]
	s_cbranch_vccnz .LBB8_485
; %bb.484:
	global_load_dword v2, v[0:1], off
	s_waitcnt vmcnt(0)
	v_cvt_f32_f16_e32 v2, v2
	v_cvt_f64_f32_e32 v[2:3], v2
.LBB8_485:
	s_mov_b64 s[0:1], 0
.LBB8_486:
	s_andn2_b64 vcc, exec, s[0:1]
	s_cbranch_vccnz .LBB8_497
; %bb.487:
	v_cmp_gt_i16_e32 vcc, 6, v11
	s_cbranch_vccnz .LBB8_490
; %bb.488:
	v_cmp_lt_i16_e32 vcc, 6, v11
	s_cbranch_vccz .LBB8_491
; %bb.489:
	global_load_dwordx2 v[2:3], v[0:1], off
	s_mov_b64 s[0:1], 0
	s_branch .LBB8_492
.LBB8_490:
	s_mov_b64 s[0:1], -1
                                        ; implicit-def: $vgpr2_vgpr3
	s_branch .LBB8_495
.LBB8_491:
	s_mov_b64 s[0:1], -1
                                        ; implicit-def: $vgpr2_vgpr3
.LBB8_492:
	s_andn2_b64 vcc, exec, s[0:1]
	s_cbranch_vccnz .LBB8_494
; %bb.493:
	global_load_dword v2, v[0:1], off
	s_waitcnt vmcnt(0)
	v_cvt_f64_f32_e32 v[2:3], v2
.LBB8_494:
	s_mov_b64 s[0:1], 0
.LBB8_495:
	s_andn2_b64 vcc, exec, s[0:1]
	s_cbranch_vccnz .LBB8_497
; %bb.496:
	global_load_ushort v2, v[0:1], off
	s_waitcnt vmcnt(0)
	v_cvt_f32_f16_e32 v2, v2
	v_cvt_f64_f32_e32 v[2:3], v2
.LBB8_497:
	s_mov_b64 s[0:1], 0
.LBB8_498:
	s_andn2_b64 vcc, exec, s[0:1]
	s_cbranch_vccnz .LBB8_518
; %bb.499:
	v_cmp_gt_i16_e32 vcc, 2, v11
	s_cbranch_vccnz .LBB8_503
; %bb.500:
	v_cmp_gt_i16_e32 vcc, 3, v11
	s_cbranch_vccnz .LBB8_504
; %bb.501:
	v_cmp_lt_i16_e32 vcc, 3, v11
	s_cbranch_vccz .LBB8_505
; %bb.502:
	global_load_dwordx2 v[2:3], v[0:1], off
	s_mov_b64 s[0:1], 0
	s_waitcnt vmcnt(0)
	v_cvt_f64_i32_e32 v[4:5], v3
	v_cvt_f64_u32_e32 v[2:3], v2
	v_ldexp_f64 v[4:5], v[4:5], 32
	v_add_f64 v[2:3], v[4:5], v[2:3]
	s_branch .LBB8_506
.LBB8_503:
	s_mov_b64 s[0:1], -1
                                        ; implicit-def: $vgpr2_vgpr3
	s_branch .LBB8_512
.LBB8_504:
	s_mov_b64 s[0:1], -1
                                        ; implicit-def: $vgpr2_vgpr3
	s_branch .LBB8_509
.LBB8_505:
	s_mov_b64 s[0:1], -1
                                        ; implicit-def: $vgpr2_vgpr3
.LBB8_506:
	s_andn2_b64 vcc, exec, s[0:1]
	s_cbranch_vccnz .LBB8_508
; %bb.507:
	global_load_dword v2, v[0:1], off
	s_waitcnt vmcnt(0)
	v_cvt_f64_i32_e32 v[2:3], v2
.LBB8_508:
	s_mov_b64 s[0:1], 0
.LBB8_509:
	s_andn2_b64 vcc, exec, s[0:1]
	s_cbranch_vccnz .LBB8_511
; %bb.510:
	global_load_sshort v2, v[0:1], off
	s_waitcnt vmcnt(0)
	v_cvt_f64_i32_e32 v[2:3], v2
.LBB8_511:
	s_mov_b64 s[0:1], 0
.LBB8_512:
	s_andn2_b64 vcc, exec, s[0:1]
	s_cbranch_vccnz .LBB8_518
; %bb.513:
	v_cmp_lt_i16_e32 vcc, 0, v11
	s_cbranch_vccz .LBB8_515
; %bb.514:
	global_load_sbyte v2, v[0:1], off
	s_mov_b64 s[0:1], 0
	s_waitcnt vmcnt(0)
	v_cvt_f64_i32_e32 v[2:3], v2
	s_branch .LBB8_516
.LBB8_515:
	s_mov_b64 s[0:1], -1
                                        ; implicit-def: $vgpr2_vgpr3
.LBB8_516:
	s_andn2_b64 vcc, exec, s[0:1]
	s_cbranch_vccnz .LBB8_518
; %bb.517:
	global_load_ubyte v0, v[0:1], off
	s_waitcnt vmcnt(0)
	v_cvt_f64_u32_e32 v[2:3], v0
.LBB8_518:
	s_branch .LBB8_270
.LBB8_519:
	s_mov_b64 s[24:25], 0
                                        ; implicit-def: $vgpr10
	s_mov_b64 s[0:1], s[6:7]
.LBB8_520:
	s_andn2_b64 s[20:21], s[6:7], exec
	s_and_b64 s[0:1], s[0:1], exec
	s_or_b64 s[20:21], s[20:21], s[0:1]
	s_andn2_b64 s[0:1], s[14:15], exec
	s_and_b64 s[18:19], s[18:19], exec
	s_or_b64 s[18:19], s[0:1], s[18:19]
	s_orn2_b64 s[0:1], s[24:25], exec
.LBB8_521:
	s_or_b64 exec, exec, s[22:23]
	s_mov_b64 s[24:25], 0
	s_mov_b64 s[26:27], 0
	;; [unrolled: 1-line block ×3, first 2 shown]
                                        ; implicit-def: $vgpr0_vgpr1
                                        ; implicit-def: $vgpr2_vgpr3
	s_and_saveexec_b64 s[22:23], s[0:1]
	s_cbranch_execz .LBB8_870
; %bb.522:
	v_cmp_gt_i32_e32 vcc, s33, v10
	s_mov_b64 s[34:35], -1
	s_mov_b64 s[0:1], s[18:19]
	s_mov_b64 s[28:29], s[20:21]
	s_and_saveexec_b64 s[24:25], vcc
	s_cbranch_execz .LBB8_784
; %bb.523:
	v_mul_lo_u32 v0, v10, s3
	v_ashrrev_i32_e32 v1, 31, v0
	s_waitcnt vmcnt(0)
	v_mov_b32_e32 v2, s11
	v_add_co_u32_e32 v0, vcc, s10, v0
	v_addc_co_u32_e32 v1, vcc, v2, v1, vcc
	v_cmp_gt_i16_e32 vcc, 11, v11
	s_cbranch_vccnz .LBB8_530
; %bb.524:
	v_cmp_lt_i16_e32 vcc, 25, v11
	s_cbranch_vccz .LBB8_531
; %bb.525:
	v_cmp_lt_i16_e32 vcc, 28, v11
	s_cbranch_vccz .LBB8_532
	;; [unrolled: 3-line block ×4, first 2 shown]
; %bb.528:
	v_cmp_eq_u16_e32 vcc, 46, v11
	s_mov_b64 s[28:29], 0
	s_cbranch_vccz .LBB8_539
; %bb.529:
	global_load_dword v2, v[0:1], off
	s_mov_b64 s[0:1], -1
	s_waitcnt vmcnt(0)
	v_lshlrev_b32_e32 v2, 16, v2
	v_cvt_f64_f32_e32 v[2:3], v2
	s_branch .LBB8_540
.LBB8_530:
	s_mov_b64 s[28:29], -1
	s_mov_b64 s[0:1], 0
                                        ; implicit-def: $vgpr2_vgpr3
	s_mov_b64 s[26:27], s[18:19]
	s_branch .LBB8_605
.LBB8_531:
	s_mov_b64 s[28:29], -1
	s_mov_b64 s[0:1], 0
	s_mov_b64 s[26:27], s[18:19]
                                        ; implicit-def: $vgpr2_vgpr3
	s_branch .LBB8_569
.LBB8_532:
	s_mov_b64 s[28:29], -1
	s_mov_b64 s[0:1], 0
	s_mov_b64 s[26:27], s[18:19]
                                        ; implicit-def: $vgpr2_vgpr3
	s_branch .LBB8_550
.LBB8_533:
	s_mov_b64 s[28:29], -1
	s_mov_b64 s[0:1], 0
	s_mov_b64 s[26:27], s[18:19]
                                        ; implicit-def: $vgpr2_vgpr3
	s_branch .LBB8_545
.LBB8_534:
	s_or_saveexec_b64 s[26:27], s[26:27]
                                        ; implicit-def: $sgpr28
	s_xor_b64 exec, exec, s[26:27]
	s_cbranch_execz .LBB8_319
.LBB8_535:
	s_mov_b32 s28, 0x46000000
	v_add_f32_e64 v3, |v2|, s28
	v_and_b32_e32 v3, 0xff, v3
	v_cmp_ne_u32_e32 vcc, 0, v3
	s_andn2_b64 s[24:25], s[24:25], exec
	s_and_b64 s[30:31], vcc, exec
	s_mov_b32 s28, 0
	s_or_b64 s[24:25], s[24:25], s[30:31]
	s_or_b64 exec, exec, s[26:27]
	v_mov_b32_e32 v6, s28
	s_and_saveexec_b64 s[26:27], s[24:25]
	s_cbranch_execnz .LBB8_320
	s_branch .LBB8_321
.LBB8_536:
	s_mov_b64 s[28:29], -1
	s_mov_b64 s[0:1], 0
	s_mov_b64 s[26:27], s[18:19]
                                        ; implicit-def: $vgpr2_vgpr3
	s_branch .LBB8_540
.LBB8_537:
	s_or_saveexec_b64 s[26:27], s[26:27]
                                        ; implicit-def: $sgpr28
	s_xor_b64 exec, exec, s[26:27]
	s_cbranch_execz .LBB8_332
.LBB8_538:
	s_mov_b32 s28, 0x42800000
	v_add_f32_e64 v3, |v2|, s28
	v_and_b32_e32 v3, 0xff, v3
	v_cmp_ne_u32_e32 vcc, 0, v3
	s_andn2_b64 s[24:25], s[24:25], exec
	s_and_b64 s[30:31], vcc, exec
	s_mov_b32 s28, 0
	s_or_b64 s[24:25], s[24:25], s[30:31]
	s_or_b64 exec, exec, s[26:27]
	v_mov_b32_e32 v6, s28
	s_and_saveexec_b64 s[26:27], s[24:25]
	s_cbranch_execnz .LBB8_333
	s_branch .LBB8_334
.LBB8_539:
	s_mov_b64 s[26:27], -1
                                        ; implicit-def: $vgpr2_vgpr3
	s_mov_b64 s[0:1], 0
.LBB8_540:
	s_and_b64 vcc, exec, s[28:29]
	s_cbranch_vccz .LBB8_544
; %bb.541:
	v_cmp_eq_u16_e32 vcc, 44, v11
	s_cbranch_vccz .LBB8_543
; %bb.542:
	global_load_ubyte v4, v[0:1], off
	s_movk_i32 s26, 0xff
	v_bfrev_b32_e32 v5, 4
	v_mov_b32_e32 v6, 0x7ff80000
	v_bfrev_b32_e32 v7, 28
	s_mov_b64 s[0:1], -1
	s_waitcnt vmcnt(0)
	v_lshlrev_b32_e32 v2, 23, v4
	v_cvt_f64_f32_e32 v[2:3], v2
	v_cmp_ne_u32_e32 vcc, s26, v4
	v_cndmask_b32_e32 v2, v5, v2, vcc
	v_cndmask_b32_e32 v3, v6, v3, vcc
	v_cmp_ne_u32_e32 vcc, 0, v4
	v_cndmask_b32_e32 v3, v7, v3, vcc
	v_cndmask_b32_e32 v2, 0, v2, vcc
	s_mov_b64 s[26:27], 0
	s_branch .LBB8_544
.LBB8_543:
	s_mov_b64 s[26:27], -1
                                        ; implicit-def: $vgpr2_vgpr3
.LBB8_544:
	s_mov_b64 s[28:29], 0
.LBB8_545:
	s_and_b64 vcc, exec, s[28:29]
	s_cbranch_vccz .LBB8_549
; %bb.546:
	v_cmp_eq_u16_e32 vcc, 29, v11
	s_cbranch_vccz .LBB8_548
; %bb.547:
	global_load_dwordx2 v[2:3], v[0:1], off
	s_mov_b64 s[0:1], -1
	s_mov_b64 s[26:27], 0
	s_mov_b64 s[28:29], 0
	s_waitcnt vmcnt(0)
	v_cvt_f64_u32_e32 v[4:5], v3
	v_cvt_f64_u32_e32 v[2:3], v2
	v_ldexp_f64 v[4:5], v[4:5], 32
	v_add_f64 v[2:3], v[4:5], v[2:3]
	s_branch .LBB8_550
.LBB8_548:
	s_mov_b64 s[26:27], -1
                                        ; implicit-def: $vgpr2_vgpr3
.LBB8_549:
	s_mov_b64 s[28:29], 0
.LBB8_550:
	s_and_b64 vcc, exec, s[28:29]
	s_cbranch_vccz .LBB8_568
; %bb.551:
	v_cmp_gt_i16_e32 vcc, 27, v11
	s_cbranch_vccnz .LBB8_554
; %bb.552:
	v_cmp_lt_i16_e32 vcc, 27, v11
	s_cbranch_vccz .LBB8_555
; %bb.553:
	global_load_dword v2, v[0:1], off
	s_mov_b64 s[0:1], 0
	s_waitcnt vmcnt(0)
	v_cvt_f64_u32_e32 v[2:3], v2
	s_branch .LBB8_556
.LBB8_554:
	s_mov_b64 s[0:1], -1
                                        ; implicit-def: $vgpr2_vgpr3
	s_branch .LBB8_559
.LBB8_555:
	s_mov_b64 s[0:1], -1
                                        ; implicit-def: $vgpr2_vgpr3
.LBB8_556:
	s_andn2_b64 vcc, exec, s[0:1]
	s_cbranch_vccnz .LBB8_558
; %bb.557:
	global_load_ushort v2, v[0:1], off
	s_waitcnt vmcnt(0)
	v_cvt_f64_u32_e32 v[2:3], v2
.LBB8_558:
	s_mov_b64 s[0:1], 0
.LBB8_559:
	s_andn2_b64 vcc, exec, s[0:1]
	s_cbranch_vccnz .LBB8_567
; %bb.560:
	global_load_ubyte v4, v[0:1], off
	s_movk_i32 s0, 0x7f
                                        ; implicit-def: $sgpr28_sgpr29
	s_waitcnt vmcnt(0)
	v_cmp_lt_i16_e32 vcc, s0, v4
	s_mov_b64 s[0:1], 0
	s_and_saveexec_b64 s[30:31], vcc
	s_xor_b64 s[30:31], exec, s[30:31]
	s_cbranch_execz .LBB8_581
; %bb.561:
	s_movk_i32 s0, 0x80
	v_cmp_eq_u16_e32 vcc, s0, v4
                                        ; implicit-def: $sgpr28_sgpr29
	s_and_saveexec_b64 s[0:1], vcc
; %bb.562:
	s_mov_b32 s29, 0x7ff80000
	s_brev_b32 s28, 4
	s_xor_b64 s[34:35], exec, -1
; %bb.563:
	s_or_b64 exec, exec, s[0:1]
	s_and_b64 s[0:1], s[34:35], exec
	s_or_saveexec_b64 s[30:31], s[30:31]
	v_pk_mov_b32 v[2:3], s[28:29], s[28:29] op_sel:[0,1]
	s_xor_b64 exec, exec, s[30:31]
	s_cbranch_execnz .LBB8_582
.LBB8_564:
	s_or_b64 exec, exec, s[30:31]
	s_and_saveexec_b64 s[28:29], s[0:1]
	s_cbranch_execz .LBB8_566
.LBB8_565:
	v_and_b32_e32 v3, 0xffff, v4
	v_lshlrev_b32_e32 v2, 24, v4
	v_and_b32_e32 v4, 7, v3
	v_ffbh_u32_e32 v6, v4
	v_min_u32_e32 v6, 32, v6
	v_subrev_u32_e32 v7, 28, v6
	v_bfe_u32 v5, v3, 3, 4
	v_lshlrev_b32_e32 v3, v7, v3
	v_sub_u32_e32 v6, 29, v6
	v_and_b32_e32 v3, 7, v3
	v_cmp_eq_u32_e32 vcc, 0, v5
	v_cndmask_b32_e32 v5, v5, v6, vcc
	v_cndmask_b32_e32 v3, v4, v3, vcc
	v_mov_b32_e32 v4, 0x3b800000
	v_lshlrev_b32_e32 v3, 20, v3
	v_and_b32_e32 v2, 0x80000000, v2
	v_lshl_add_u32 v4, v5, 23, v4
	v_or3_b32 v2, v2, v4, v3
	v_cvt_f64_f32_e32 v[2:3], v2
.LBB8_566:
	s_or_b64 exec, exec, s[28:29]
.LBB8_567:
	s_mov_b64 s[0:1], -1
.LBB8_568:
	s_mov_b64 s[28:29], 0
.LBB8_569:
	s_and_b64 vcc, exec, s[28:29]
	s_cbranch_vccz .LBB8_604
; %bb.570:
	v_cmp_lt_i16_e32 vcc, 22, v11
	s_cbranch_vccz .LBB8_580
; %bb.571:
	v_cmp_gt_i16_e32 vcc, 24, v11
	s_cbranch_vccnz .LBB8_583
; %bb.572:
	v_cmp_lt_i16_e32 vcc, 24, v11
	s_cbranch_vccz .LBB8_584
; %bb.573:
	global_load_ubyte v4, v[0:1], off
	s_movk_i32 s0, 0x7f
                                        ; implicit-def: $sgpr28_sgpr29
	s_waitcnt vmcnt(0)
	v_cmp_lt_i16_e32 vcc, s0, v4
	s_mov_b64 s[0:1], 0
	s_and_saveexec_b64 s[30:31], vcc
	s_xor_b64 s[30:31], exec, s[30:31]
	s_cbranch_execz .LBB8_596
; %bb.574:
	s_movk_i32 s0, 0x80
	v_cmp_eq_u16_e32 vcc, s0, v4
	s_mov_b64 s[34:35], -1
                                        ; implicit-def: $sgpr28_sgpr29
	s_and_saveexec_b64 s[0:1], vcc
; %bb.575:
	s_mov_b32 s29, 0x7ff80000
	s_brev_b32 s28, 4
	s_xor_b64 s[34:35], exec, -1
; %bb.576:
	s_or_b64 exec, exec, s[0:1]
	s_and_b64 s[0:1], s[34:35], exec
	s_or_saveexec_b64 s[30:31], s[30:31]
	v_pk_mov_b32 v[2:3], s[28:29], s[28:29] op_sel:[0,1]
	s_xor_b64 exec, exec, s[30:31]
	s_cbranch_execnz .LBB8_597
.LBB8_577:
	s_or_b64 exec, exec, s[30:31]
	s_and_saveexec_b64 s[28:29], s[0:1]
	s_cbranch_execz .LBB8_579
.LBB8_578:
	v_and_b32_e32 v3, 0xffff, v4
	v_lshlrev_b32_e32 v2, 24, v4
	v_and_b32_e32 v4, 3, v3
	v_ffbh_u32_e32 v6, v4
	v_min_u32_e32 v6, 32, v6
	v_subrev_u32_e32 v7, 29, v6
	v_bfe_u32 v5, v3, 2, 5
	v_lshlrev_b32_e32 v3, v7, v3
	v_sub_u32_e32 v6, 30, v6
	v_and_b32_e32 v3, 3, v3
	v_cmp_eq_u32_e32 vcc, 0, v5
	v_cndmask_b32_e32 v5, v5, v6, vcc
	v_cndmask_b32_e32 v3, v4, v3, vcc
	v_mov_b32_e32 v4, 0x37800000
	v_lshlrev_b32_e32 v3, 21, v3
	v_and_b32_e32 v2, 0x80000000, v2
	v_lshl_add_u32 v4, v5, 23, v4
	v_or3_b32 v2, v2, v4, v3
	v_cvt_f64_f32_e32 v[2:3], v2
.LBB8_579:
	s_or_b64 exec, exec, s[28:29]
	s_mov_b64 s[0:1], 0
	s_branch .LBB8_585
.LBB8_580:
	s_mov_b64 s[28:29], -1
                                        ; implicit-def: $vgpr2_vgpr3
	s_branch .LBB8_591
.LBB8_581:
	s_or_saveexec_b64 s[30:31], s[30:31]
	v_pk_mov_b32 v[2:3], s[28:29], s[28:29] op_sel:[0,1]
	s_xor_b64 exec, exec, s[30:31]
	s_cbranch_execz .LBB8_564
.LBB8_582:
	v_cmp_ne_u16_e32 vcc, 0, v4
	s_andn2_b64 s[0:1], s[0:1], exec
	s_and_b64 s[28:29], vcc, exec
	v_pk_mov_b32 v[2:3], 0, 0
	s_or_b64 s[0:1], s[0:1], s[28:29]
	s_or_b64 exec, exec, s[30:31]
	s_and_saveexec_b64 s[28:29], s[0:1]
	s_cbranch_execnz .LBB8_565
	s_branch .LBB8_566
.LBB8_583:
	s_mov_b64 s[0:1], -1
                                        ; implicit-def: $vgpr2_vgpr3
	s_branch .LBB8_588
.LBB8_584:
	s_mov_b64 s[0:1], -1
                                        ; implicit-def: $vgpr2_vgpr3
.LBB8_585:
	s_and_b64 vcc, exec, s[0:1]
	s_cbranch_vccz .LBB8_587
; %bb.586:
	global_load_ubyte v2, v[0:1], off
	s_mov_b32 s0, 0x7f800000
	s_waitcnt vmcnt(0)
	v_lshlrev_b32_e32 v2, 24, v2
	v_and_b32_e32 v3, 0x7f000000, v2
	v_ffbh_u32_e32 v4, v3
	v_min_u32_e32 v4, 32, v4
	v_sub_u32_e64 v4, v4, 4 clamp
	v_lshlrev_b32_e32 v6, v4, v3
	v_lshlrev_b32_e32 v4, 23, v4
	v_lshrrev_b32_e32 v6, 4, v6
	v_add_u32_e32 v5, 0x1000000, v3
	v_sub_u32_e32 v4, v6, v4
	v_ashrrev_i32_e32 v5, 8, v5
	v_add_u32_e32 v4, 0x3c000000, v4
	v_and_or_b32 v4, v5, s0, v4
	v_cmp_ne_u32_e32 vcc, 0, v3
	v_cndmask_b32_e32 v3, 0, v4, vcc
	s_brev_b32 s0, 1
	v_and_or_b32 v2, v2, s0, v3
	v_cvt_f64_f32_e32 v[2:3], v2
.LBB8_587:
	s_mov_b64 s[0:1], 0
.LBB8_588:
	s_andn2_b64 vcc, exec, s[0:1]
	s_cbranch_vccnz .LBB8_590
; %bb.589:
	global_load_ubyte v2, v[0:1], off
	s_movk_i32 s0, 0x7f00
	s_brev_b32 s1, 16
	s_waitcnt vmcnt(0)
	v_lshlrev_b16_e32 v3, 8, v2
	v_lshlrev_b32_e32 v2, 25, v2
	v_lshrrev_b32_e32 v4, 4, v2
	v_and_or_b32 v5, v3, s0, 0.5
	v_or_b32_e32 v4, 0x70000000, v4
	v_add_f32_e32 v5, -0.5, v5
	v_mul_f32_e32 v4, 0x7800000, v4
	v_cmp_gt_u32_e32 vcc, s1, v2
	v_bfe_i32 v3, v3, 0, 16
	v_cndmask_b32_e32 v2, v4, v5, vcc
	s_brev_b32 s0, 1
	v_and_or_b32 v2, v3, s0, v2
	v_cvt_f64_f32_e32 v[2:3], v2
.LBB8_590:
	s_mov_b64 s[28:29], 0
	s_mov_b64 s[0:1], -1
.LBB8_591:
	s_andn2_b64 vcc, exec, s[28:29]
	s_cbranch_vccnz .LBB8_604
; %bb.592:
	v_cmp_lt_i16_e32 vcc, 14, v11
	s_cbranch_vccz .LBB8_595
; %bb.593:
	v_cmp_eq_u16_e32 vcc, 15, v11
	s_cbranch_vccz .LBB8_598
; %bb.594:
	global_load_ushort v2, v[0:1], off
	s_mov_b64 s[0:1], -1
	s_mov_b64 s[26:27], 0
	s_waitcnt vmcnt(0)
	v_lshlrev_b32_e32 v2, 16, v2
	v_cvt_f64_f32_e32 v[2:3], v2
	s_branch .LBB8_599
.LBB8_595:
	s_mov_b64 s[28:29], -1
                                        ; implicit-def: $vgpr2_vgpr3
	s_branch .LBB8_600
.LBB8_596:
	s_or_saveexec_b64 s[30:31], s[30:31]
	v_pk_mov_b32 v[2:3], s[28:29], s[28:29] op_sel:[0,1]
	s_xor_b64 exec, exec, s[30:31]
	s_cbranch_execz .LBB8_577
.LBB8_597:
	v_cmp_ne_u16_e32 vcc, 0, v4
	s_andn2_b64 s[0:1], s[0:1], exec
	s_and_b64 s[28:29], vcc, exec
	v_pk_mov_b32 v[2:3], 0, 0
	s_or_b64 s[0:1], s[0:1], s[28:29]
	s_or_b64 exec, exec, s[30:31]
	s_and_saveexec_b64 s[28:29], s[0:1]
	s_cbranch_execnz .LBB8_578
	s_branch .LBB8_579
.LBB8_598:
	s_mov_b64 s[26:27], -1
                                        ; implicit-def: $vgpr2_vgpr3
.LBB8_599:
	s_mov_b64 s[28:29], 0
.LBB8_600:
	s_and_b64 vcc, exec, s[28:29]
	s_cbranch_vccz .LBB8_604
; %bb.601:
	v_cmp_eq_u16_e32 vcc, 11, v11
	s_cbranch_vccz .LBB8_603
; %bb.602:
	global_load_ubyte v3, v[0:1], off
	v_mov_b32_e32 v4, 0x3ff00000
	v_mov_b32_e32 v2, 0
	s_mov_b64 s[0:1], -1
	s_mov_b64 s[26:27], 0
	s_waitcnt vmcnt(0)
	v_cmp_ne_u16_e32 vcc, 0, v3
	v_cndmask_b32_e32 v3, 0, v4, vcc
	s_branch .LBB8_604
.LBB8_603:
	s_mov_b64 s[26:27], -1
                                        ; implicit-def: $vgpr2_vgpr3
.LBB8_604:
	s_mov_b64 s[28:29], 0
.LBB8_605:
	s_and_b64 vcc, exec, s[28:29]
	s_cbranch_vccz .LBB8_654
; %bb.606:
	v_cmp_gt_i16_e32 vcc, 5, v11
	s_cbranch_vccnz .LBB8_611
; %bb.607:
	v_cmp_gt_i16_e32 vcc, 8, v11
	s_cbranch_vccnz .LBB8_612
; %bb.608:
	v_cmp_gt_i16_e32 vcc, 9, v11
	s_cbranch_vccnz .LBB8_613
; %bb.609:
	v_cmp_lt_i16_e32 vcc, 9, v11
	s_cbranch_vccz .LBB8_614
; %bb.610:
	global_load_dwordx2 v[2:3], v[0:1], off
	s_mov_b64 s[0:1], 0
	s_branch .LBB8_615
.LBB8_611:
	s_mov_b64 s[0:1], -1
                                        ; implicit-def: $vgpr2_vgpr3
	s_branch .LBB8_633
.LBB8_612:
	s_mov_b64 s[0:1], -1
                                        ; implicit-def: $vgpr2_vgpr3
	s_branch .LBB8_621
.LBB8_613:
	s_mov_b64 s[0:1], -1
                                        ; implicit-def: $vgpr2_vgpr3
	s_branch .LBB8_618
.LBB8_614:
	s_mov_b64 s[0:1], -1
                                        ; implicit-def: $vgpr2_vgpr3
.LBB8_615:
	s_andn2_b64 vcc, exec, s[0:1]
	s_cbranch_vccnz .LBB8_617
; %bb.616:
	global_load_dword v2, v[0:1], off
	s_waitcnt vmcnt(0)
	v_cvt_f64_f32_e32 v[2:3], v2
.LBB8_617:
	s_mov_b64 s[0:1], 0
.LBB8_618:
	s_andn2_b64 vcc, exec, s[0:1]
	s_cbranch_vccnz .LBB8_620
; %bb.619:
	global_load_dword v2, v[0:1], off
	s_waitcnt vmcnt(0)
	v_cvt_f32_f16_e32 v2, v2
	v_cvt_f64_f32_e32 v[2:3], v2
.LBB8_620:
	s_mov_b64 s[0:1], 0
.LBB8_621:
	s_andn2_b64 vcc, exec, s[0:1]
	s_cbranch_vccnz .LBB8_632
; %bb.622:
	v_cmp_gt_i16_e32 vcc, 6, v11
	s_cbranch_vccnz .LBB8_625
; %bb.623:
	v_cmp_lt_i16_e32 vcc, 6, v11
	s_cbranch_vccz .LBB8_626
; %bb.624:
	global_load_dwordx2 v[2:3], v[0:1], off
	s_mov_b64 s[0:1], 0
	s_branch .LBB8_627
.LBB8_625:
	s_mov_b64 s[0:1], -1
                                        ; implicit-def: $vgpr2_vgpr3
	s_branch .LBB8_630
.LBB8_626:
	s_mov_b64 s[0:1], -1
                                        ; implicit-def: $vgpr2_vgpr3
.LBB8_627:
	s_andn2_b64 vcc, exec, s[0:1]
	s_cbranch_vccnz .LBB8_629
; %bb.628:
	global_load_dword v2, v[0:1], off
	s_waitcnt vmcnt(0)
	v_cvt_f64_f32_e32 v[2:3], v2
.LBB8_629:
	s_mov_b64 s[0:1], 0
.LBB8_630:
	s_andn2_b64 vcc, exec, s[0:1]
	s_cbranch_vccnz .LBB8_632
; %bb.631:
	global_load_ushort v2, v[0:1], off
	s_waitcnt vmcnt(0)
	v_cvt_f32_f16_e32 v2, v2
	v_cvt_f64_f32_e32 v[2:3], v2
.LBB8_632:
	s_mov_b64 s[0:1], 0
.LBB8_633:
	s_andn2_b64 vcc, exec, s[0:1]
	s_cbranch_vccnz .LBB8_653
; %bb.634:
	v_cmp_gt_i16_e32 vcc, 2, v11
	s_cbranch_vccnz .LBB8_638
; %bb.635:
	v_cmp_gt_i16_e32 vcc, 3, v11
	s_cbranch_vccnz .LBB8_639
; %bb.636:
	v_cmp_lt_i16_e32 vcc, 3, v11
	s_cbranch_vccz .LBB8_640
; %bb.637:
	global_load_dwordx2 v[2:3], v[0:1], off
	s_mov_b64 s[0:1], 0
	s_waitcnt vmcnt(0)
	v_cvt_f64_i32_e32 v[4:5], v3
	v_cvt_f64_u32_e32 v[2:3], v2
	v_ldexp_f64 v[4:5], v[4:5], 32
	v_add_f64 v[2:3], v[4:5], v[2:3]
	s_branch .LBB8_641
.LBB8_638:
	s_mov_b64 s[0:1], -1
                                        ; implicit-def: $vgpr2_vgpr3
	s_branch .LBB8_647
.LBB8_639:
	s_mov_b64 s[0:1], -1
                                        ; implicit-def: $vgpr2_vgpr3
	s_branch .LBB8_644
.LBB8_640:
	s_mov_b64 s[0:1], -1
                                        ; implicit-def: $vgpr2_vgpr3
.LBB8_641:
	s_andn2_b64 vcc, exec, s[0:1]
	s_cbranch_vccnz .LBB8_643
; %bb.642:
	global_load_dword v2, v[0:1], off
	s_waitcnt vmcnt(0)
	v_cvt_f64_i32_e32 v[2:3], v2
.LBB8_643:
	s_mov_b64 s[0:1], 0
.LBB8_644:
	s_andn2_b64 vcc, exec, s[0:1]
	s_cbranch_vccnz .LBB8_646
; %bb.645:
	global_load_sshort v2, v[0:1], off
	s_waitcnt vmcnt(0)
	v_cvt_f64_i32_e32 v[2:3], v2
.LBB8_646:
	s_mov_b64 s[0:1], 0
.LBB8_647:
	s_andn2_b64 vcc, exec, s[0:1]
	s_cbranch_vccnz .LBB8_653
; %bb.648:
	v_cmp_lt_i16_e32 vcc, 0, v11
	s_cbranch_vccz .LBB8_650
; %bb.649:
	global_load_sbyte v2, v[0:1], off
	s_mov_b64 s[0:1], 0
	s_waitcnt vmcnt(0)
	v_cvt_f64_i32_e32 v[2:3], v2
	s_branch .LBB8_651
.LBB8_650:
	s_mov_b64 s[0:1], -1
                                        ; implicit-def: $vgpr2_vgpr3
.LBB8_651:
	s_andn2_b64 vcc, exec, s[0:1]
	s_cbranch_vccnz .LBB8_653
; %bb.652:
	global_load_ubyte v0, v[0:1], off
	s_waitcnt vmcnt(0)
	v_cvt_f64_u32_e32 v[2:3], v0
.LBB8_653:
	s_mov_b64 s[0:1], -1
.LBB8_654:
	s_andn2_b64 vcc, exec, s[0:1]
	s_cbranch_vccnz .LBB8_666
; %bb.655:
	s_mov_b32 s0, 0
	s_mov_b32 s1, 0x40200000
	s_waitcnt vmcnt(0)
	v_cmp_le_f64_e64 s[0:1], |v[2:3]|, s[0:1]
                                        ; implicit-def: $vgpr0_vgpr1
	s_and_saveexec_b64 s[28:29], s[0:1]
	s_xor_b64 s[0:1], exec, s[28:29]
	s_cbranch_execz .LBB8_657
; %bb.656:
	s_mov_b32 s28, 0x2134d0ef
	v_fma_f64 v[0:1], |v[2:3]|, 0.5, -2.0
	v_mov_b32_e32 v4, 0x977da589
	v_mov_b32_e32 v5, 0x3c833362
	s_mov_b32 s29, 0xbc545cb7
	v_fmac_f64_e32 v[4:5], s[28:29], v[0:1]
	v_mov_b32_e32 v6, 0x2134d0ef
	v_mov_b32_e32 v7, 0x3c545cb7
	s_mov_b32 s28, 0x721ebbb4
	v_fmac_f64_e32 v[6:7], v[0:1], v[4:5]
	s_mov_b32 s29, 0xbcb184eb
	v_add_f64 v[6:7], v[6:7], s[28:29]
	s_mov_b32 s28, 0x93f65eba
	v_fma_f64 v[4:5], v[0:1], v[6:7], -v[4:5]
	s_mov_b32 s29, 0x3cdee6d8
	v_add_f64 v[4:5], v[4:5], s[28:29]
	s_mov_b32 s28, 0xc297fbeb
	v_fma_f64 v[6:7], v[0:1], v[4:5], -v[6:7]
	s_mov_b32 s29, 0xbd0a5022
	v_add_f64 v[6:7], v[6:7], s[28:29]
	s_mov_b32 s28, 0x4b262627
	v_fma_f64 v[4:5], v[0:1], v[6:7], -v[4:5]
	s_mov_b32 s29, 0x3d359b46
	v_add_f64 v[4:5], v[4:5], s[28:29]
	s_mov_b32 s28, 0x62ee1af0
	v_fma_f64 v[6:7], v[0:1], v[4:5], -v[6:7]
	s_mov_b32 s29, 0xbd61164c
	v_add_f64 v[6:7], v[6:7], s[28:29]
	s_mov_b32 s28, 0xe19bd324
	v_fma_f64 v[4:5], v[0:1], v[6:7], -v[4:5]
	s_mov_b32 s29, 0x3d89fe2f
	v_add_f64 v[4:5], v[4:5], s[28:29]
	s_mov_b32 s28, 0x7a946abc
	v_fma_f64 v[6:7], v[0:1], v[4:5], -v[6:7]
	s_mov_b32 s29, 0xbdb2fc95
	v_add_f64 v[6:7], v[6:7], s[28:29]
	s_mov_b32 s28, 0xcc743c10
	v_fma_f64 v[4:5], v[0:1], v[6:7], -v[4:5]
	s_mov_b32 s29, 0x3dda98be
	v_add_f64 v[4:5], v[4:5], s[28:29]
	s_mov_b32 s28, 0x13ae9556
	v_fma_f64 v[6:7], v[0:1], v[4:5], -v[6:7]
	s_mov_b32 s29, 0xbe01d4fe
	v_add_f64 v[6:7], v[6:7], s[28:29]
	s_mov_b32 s28, 0xa454cb34
	v_fma_f64 v[4:5], v[0:1], v[6:7], -v[4:5]
	s_mov_b32 s29, 0x3e26d903
	v_add_f64 v[4:5], v[4:5], s[28:29]
	s_mov_b32 s28, 0x8c0b30ab
	v_fma_f64 v[6:7], v[0:1], v[4:5], -v[6:7]
	s_mov_b32 s29, 0xbe4beaf6
	v_add_f64 v[6:7], v[6:7], s[28:29]
	s_mov_b32 s28, 0x9d4d6435
	v_fma_f64 v[4:5], v[0:1], v[6:7], -v[4:5]
	s_mov_b32 s29, 0x3e703b76
	v_add_f64 v[4:5], v[4:5], s[28:29]
	s_mov_b32 s28, 0x8f227f8d
	v_fma_f64 v[6:7], v[0:1], v[4:5], -v[6:7]
	s_mov_b32 s29, 0xbe91ec63
	v_add_f64 v[6:7], v[6:7], s[28:29]
	s_mov_b32 s28, 0x978cf4ac
	v_fma_f64 v[4:5], v[0:1], v[6:7], -v[4:5]
	s_mov_b32 s29, 0x3eb2bf24
	v_add_f64 v[4:5], v[4:5], s[28:29]
	s_mov_b32 s28, 0xcba56427
	v_fma_f64 v[6:7], v[0:1], v[4:5], -v[6:7]
	s_mov_b32 s29, 0xbed2866f
	v_add_f64 v[6:7], v[6:7], s[28:29]
	s_mov_b32 s28, 0xbe9a2859
	v_fma_f64 v[4:5], v[0:1], v[6:7], -v[4:5]
	s_mov_b32 s29, 0x3ef13f58
	v_add_f64 v[4:5], v[4:5], s[28:29]
	s_mov_b32 s28, 0x59c41d5a
	v_fma_f64 v[6:7], v[0:1], v[4:5], -v[6:7]
	s_mov_b32 s29, 0xbf0e2b26
	v_add_f64 v[6:7], v[6:7], s[28:29]
	s_mov_b32 s28, 0x74107cab
	v_fma_f64 v[4:5], v[0:1], v[6:7], -v[4:5]
	s_mov_b32 s29, 0x3f28b51b
	v_add_f64 v[4:5], v[4:5], s[28:29]
	s_mov_b32 s28, 0x1f15eb52
	v_fma_f64 v[6:7], v[0:1], v[4:5], -v[6:7]
	s_mov_b32 s29, 0xbf42e2fd
	v_add_f64 v[6:7], v[6:7], s[28:29]
	s_mov_b32 s28, 0x8a12100e
	v_fma_f64 v[4:5], v[0:1], v[6:7], -v[4:5]
	s_mov_b32 s29, 0x3f5adc75
	v_add_f64 v[4:5], v[4:5], s[28:29]
	s_mov_b32 s28, 0x201aa849
	v_fma_f64 v[6:7], v[0:1], v[4:5], -v[6:7]
	s_mov_b32 s29, 0xbf71b65e
	v_add_f64 v[6:7], v[6:7], s[28:29]
	s_mov_b32 s28, 0xf3dde3dd
	v_fma_f64 v[4:5], v[0:1], v[6:7], -v[4:5]
	s_mov_b32 s29, 0x3f859961
	v_add_f64 v[4:5], v[4:5], s[28:29]
	s_mov_b32 s28, 0xf121b6f0
	v_fma_f64 v[6:7], v[0:1], v[4:5], -v[6:7]
	s_mov_b32 s29, 0xbf984e9e
	v_add_f64 v[6:7], v[6:7], s[28:29]
	s_mov_b32 s28, 0xcea8a32d
	v_fma_f64 v[4:5], v[0:1], v[6:7], -v[4:5]
	s_mov_b32 s29, 0x3fa93e8a
	v_add_f64 v[4:5], v[4:5], s[28:29]
	s_mov_b32 s28, 0x342d06ea
	v_fma_f64 v[6:7], v[0:1], v[4:5], -v[6:7]
	s_mov_b32 s29, 0xbfb84b70
	v_add_f64 v[6:7], v[6:7], s[28:29]
	s_mov_b32 s28, 0x77ac88c0
	v_fma_f64 v[4:5], v[0:1], v[6:7], -v[4:5]
	s_mov_b32 s29, 0x3fc5f7ac
	v_add_f64 v[4:5], v[4:5], s[28:29]
	s_mov_b32 s28, 0xc057cd8d
	v_fma_f64 v[6:7], v[0:1], v[4:5], -v[6:7]
	s_mov_b32 s29, 0xbfd37feb
	v_add_f64 v[6:7], v[6:7], s[28:29]
	s_mov_b32 s28, 0x9035a22a
	v_fma_f64 v[0:1], v[0:1], v[6:7], -v[4:5]
	s_mov_b32 s29, 0x3fe5a84e
	v_add_f64 v[0:1], v[0:1], s[28:29]
	s_mov_b32 s28, 0x652b82fe
	s_mov_b32 s29, 0x3ff71547
	v_mul_f64 v[6:7], |v[2:3]|, s[28:29]
	s_mov_b32 s28, 0xfefa39ef
	v_rndne_f64_e32 v[6:7], v[6:7]
	s_mov_b32 s29, 0xbfe62e42
	v_fma_f64 v[8:9], v[6:7], s[28:29], |v[2:3]|
	s_mov_b32 s28, 0x3b39803f
	s_mov_b32 s29, 0xbc7abc9e
	v_fmac_f64_e32 v[8:9], s[28:29], v[6:7]
	s_mov_b32 s28, 0x6a5dcb37
	v_mov_b32_e32 v12, 0xfca7ab0c
	v_mov_b32_e32 v13, 0x3e928af3
	s_mov_b32 s29, 0x3e5ade15
	v_fmac_f64_e32 v[12:13], s[28:29], v[8:9]
	v_mov_b32_e32 v16, 0x623fde64
	v_mov_b32_e32 v17, 0x3ec71dee
	v_fmac_f64_e32 v[16:17], v[8:9], v[12:13]
	v_mov_b32_e32 v12, 0x7c89e6b0
	v_mov_b32_e32 v13, 0x3efa0199
	;; [unrolled: 3-line block ×8, first 2 shown]
	v_fmac_f64_e32 v[12:13], v[8:9], v[16:17]
	v_fma_f64 v[12:13], v[8:9], v[12:13], 1.0
	s_mov_b32 s28, 0
	v_fma_f64 v[8:9], v[8:9], v[12:13], 1.0
	v_cvt_i32_f64_e32 v6, v[6:7]
	s_mov_b32 s29, 0x40900000
	v_ldexp_f64 v[6:7], v[8:9], v6
	v_mov_b32_e32 v8, 0x7ff00000
	v_cmp_ngt_f64_e64 vcc, |v[2:3]|, s[28:29]
	v_add_f64 v[0:1], v[0:1], -v[4:5]
	v_cndmask_b32_e32 v3, v8, v7, vcc
	v_cndmask_b32_e32 v2, 0, v6, vcc
	v_mul_f64 v[0:1], v[0:1], 0.5
	v_mul_f64 v[0:1], v[2:3], v[0:1]
                                        ; implicit-def: $vgpr2_vgpr3
.LBB8_657:
	s_andn2_saveexec_b64 s[0:1], s[0:1]
	s_cbranch_execz .LBB8_659
; %bb.658:
	s_mov_b32 s28, 0
	v_and_b32_e32 v1, 0x7fffffff, v3
	v_mov_b32_e32 v0, v2
	s_mov_b32 s29, 0x40400000
	v_div_scale_f64 v[4:5], s[30:31], v[0:1], v[0:1], s[28:29]
	v_rcp_f64_e32 v[6:7], v[4:5]
	v_div_scale_f64 v[0:1], vcc, s[28:29], v[0:1], s[28:29]
	v_mov_b32_e32 v12, 0xfca7ab0c
	v_fma_f64 v[8:9], -v[4:5], v[6:7], 1.0
	v_fmac_f64_e32 v[6:7], v[6:7], v[8:9]
	v_fma_f64 v[8:9], -v[4:5], v[6:7], 1.0
	v_fmac_f64_e32 v[6:7], v[6:7], v[8:9]
	v_mul_f64 v[8:9], v[0:1], v[6:7]
	v_fma_f64 v[0:1], -v[4:5], v[8:9], v[0:1]
	v_div_fmas_f64 v[0:1], v[0:1], v[6:7], v[8:9]
	v_div_fixup_f64 v[0:1], v[0:1], |v[2:3]|, s[28:29]
	s_mov_b32 s28, 0x54ca8b19
	v_add_f64 v[0:1], v[0:1], -2.0
	v_mov_b32_e32 v4, 0x66119130
	v_mov_b32_e32 v5, 0xbc5646da
	s_mov_b32 s29, 0xbc60adb7
	v_fmac_f64_e32 v[4:5], s[28:29], v[0:1]
	v_mov_b32_e32 v6, 0x54ca8b19
	v_mov_b32_e32 v7, 0x3c60adb7
	s_mov_b32 s28, 0x12d98421
	v_fmac_f64_e32 v[6:7], v[0:1], v[4:5]
	s_mov_b32 s29, 0x3c89be18
	v_add_f64 v[6:7], v[6:7], s[28:29]
	s_mov_b32 s28, 0x76041cd
	v_fma_f64 v[4:5], v[0:1], v[6:7], -v[4:5]
	s_mov_b32 s29, 0x3c83f3dd
	v_add_f64 v[4:5], v[4:5], s[28:29]
	s_mov_b32 s28, 0xabd21fe4
	v_fma_f64 v[6:7], v[0:1], v[4:5], -v[6:7]
	s_mov_b32 s29, 0xbcb4600b
	v_add_f64 v[6:7], v[6:7], s[28:29]
	s_mov_b32 s28, 0xd908de38
	v_fma_f64 v[4:5], v[0:1], v[6:7], -v[4:5]
	s_mov_b32 s29, 0xbcb8aee7
	v_add_f64 v[4:5], v[4:5], s[28:29]
	s_mov_b32 s28, 0xa3eafb1f
	v_fma_f64 v[6:7], v[0:1], v[4:5], -v[6:7]
	s_mov_b32 s29, 0x3cdfee7d
	v_add_f64 v[6:7], v[6:7], s[28:29]
	s_mov_b32 s28, 0x9094e6d7
	v_fma_f64 v[4:5], v[0:1], v[6:7], -v[4:5]
	s_mov_b32 s29, 0x3cf12a91
	v_add_f64 v[4:5], v[4:5], s[28:29]
	s_mov_b32 s28, 0x7e65629a
	v_fma_f64 v[6:7], v[0:1], v[4:5], -v[6:7]
	s_mov_b32 s29, 0xbd0583fe
	v_add_f64 v[6:7], v[6:7], s[28:29]
	s_mov_b32 s28, 0xcf68bb32
	v_fma_f64 v[4:5], v[0:1], v[6:7], -v[4:5]
	s_mov_b32 s29, 0xbd275d99
	v_add_f64 v[4:5], v[4:5], s[28:29]
	s_mov_b32 s28, 0xd5fc545
	v_fma_f64 v[6:7], v[0:1], v[4:5], -v[6:7]
	s_mov_b32 s29, 0x3d1156ff
	v_add_f64 v[6:7], v[6:7], s[28:29]
	s_mov_b32 s28, 0x6b83c073
	v_fma_f64 v[4:5], v[0:1], v[6:7], -v[4:5]
	s_mov_b32 s29, 0x3d5b1c8c
	v_add_f64 v[4:5], v[4:5], s[28:29]
	s_mov_b32 s28, 0xfa268cec
	v_fma_f64 v[6:7], v[0:1], v[4:5], -v[6:7]
	s_mov_b32 s29, 0x3d694347
	v_add_f64 v[6:7], v[6:7], s[28:29]
	s_mov_b32 s28, 0x3178d66
	v_fma_f64 v[4:5], v[0:1], v[6:7], -v[4:5]
	s_mov_b32 s29, 0xbd7f9043
	v_add_f64 v[4:5], v[4:5], s[28:29]
	s_mov_b32 s28, 0x357e7bf2
	v_fma_f64 v[6:7], v[0:1], v[4:5], -v[6:7]
	s_mov_b32 s29, 0xbdad0fd7
	v_add_f64 v[6:7], v[6:7], s[28:29]
	s_mov_b32 s28, 0x8397425
	v_fma_f64 v[4:5], v[0:1], v[6:7], -v[4:5]
	s_mov_b32 s29, 0xbdc1511d
	v_add_f64 v[4:5], v[4:5], s[28:29]
	s_mov_b32 s28, 0xabe8004f
	v_fma_f64 v[6:7], v[0:1], v[4:5], -v[6:7]
	s_mov_b32 s29, 0x3daa24fe
	v_add_f64 v[6:7], v[6:7], s[28:29]
	s_mov_b32 s28, 0xc0f46f75
	v_fma_f64 v[4:5], v[0:1], v[6:7], -v[4:5]
	s_mov_b32 s29, 0x3e00f9cc
	v_add_f64 v[4:5], v[4:5], s[28:29]
	s_mov_b32 s28, 0xa9225b87
	v_fma_f64 v[6:7], v[0:1], v[4:5], -v[6:7]
	s_mov_b32 s29, 0x3e2d2c64
	v_add_f64 v[6:7], v[6:7], s[28:29]
	s_mov_b32 s28, 0x80d6d56d
	v_fma_f64 v[4:5], v[0:1], v[6:7], -v[4:5]
	s_mov_b32 s29, 0x3e585692
	v_add_f64 v[4:5], v[4:5], s[28:29]
	s_mov_b32 s28, 0xd9cd616e
	v_fma_f64 v[6:7], v[0:1], v[4:5], -v[6:7]
	s_mov_b32 s29, 0x3e8b8007
	v_add_f64 v[6:7], v[6:7], s[28:29]
	s_mov_b32 s28, 0xc101c586
	v_fma_f64 v[4:5], v[0:1], v[6:7], -v[4:5]
	s_mov_b32 s29, 0x3ec8412b
	v_add_f64 v[4:5], v[4:5], s[28:29]
	s_mov_b32 s28, 0x78999e52
	v_fma_f64 v[6:7], v[0:1], v[4:5], -v[6:7]
	s_mov_b32 s29, 0x3f120fa3
	v_add_f64 v[6:7], v[6:7], s[28:29]
	s_mov_b32 s28, 0xa2e59049
	v_fma_f64 v[4:5], v[0:1], v[6:7], -v[4:5]
	s_mov_b32 s29, 0x3f6b998c
	v_add_f64 v[4:5], v[4:5], s[28:29]
	s_mov_b32 s28, 0xaca809cb
	v_fma_f64 v[0:1], v[0:1], v[4:5], -v[6:7]
	s_mov_b32 s29, 0x3fe9be62
	v_add_f64 v[0:1], v[0:1], s[28:29]
	s_mov_b32 s28, 0x652b82fe
	s_mov_b32 s29, 0x3ff71547
	v_mul_f64 v[4:5], |v[2:3]|, s[28:29]
	s_mov_b32 s28, 0xfefa39ef
	v_rndne_f64_e32 v[4:5], v[4:5]
	s_mov_b32 s29, 0xbfe62e42
	v_fma_f64 v[8:9], v[4:5], s[28:29], |v[2:3]|
	s_mov_b32 s28, 0x3b39803f
	s_mov_b32 s29, 0xbc7abc9e
	v_fmac_f64_e32 v[8:9], s[28:29], v[4:5]
	s_mov_b32 s28, 0x6a5dcb37
	v_mov_b32_e32 v13, 0x3e928af3
	s_mov_b32 s29, 0x3e5ade15
	v_fmac_f64_e32 v[12:13], s[28:29], v[8:9]
	v_mov_b32_e32 v16, 0x623fde64
	v_mov_b32_e32 v17, 0x3ec71dee
	v_fmac_f64_e32 v[16:17], v[8:9], v[12:13]
	v_mov_b32_e32 v12, 0x7c89e6b0
	v_mov_b32_e32 v13, 0x3efa0199
	;; [unrolled: 3-line block ×8, first 2 shown]
	v_fmac_f64_e32 v[12:13], v[8:9], v[16:17]
	s_mov_b32 s28, 0
	v_fma_f64 v[12:13], v[8:9], v[12:13], 1.0
	s_mov_b32 s29, 0x40900000
	v_fma_f64 v[8:9], v[8:9], v[12:13], 1.0
	v_cvt_i32_f64_e32 v4, v[4:5]
	v_cmp_ngt_f64_e64 vcc, |v[2:3]|, s[28:29]
	s_mov_b32 s28, 0
	v_ldexp_f64 v[4:5], v[8:9], v4
	v_mov_b32_e32 v8, 0x7ff00000
	s_brev_b32 s29, 8
	v_cndmask_b32_e32 v5, v8, v5, vcc
	v_cndmask_b32_e32 v4, 0, v4, vcc
	v_cmp_lt_f64_e64 vcc, |v[2:3]|, s[28:29]
	v_cndmask_b32_e64 v8, 0, 1, vcc
	v_lshlrev_b32_e32 v8, 8, v8
	v_ldexp_f64 v[2:3], |v[2:3]|, v8
	v_rsq_f64_e32 v[8:9], v[2:3]
	v_add_f64 v[0:1], v[0:1], -v[6:7]
	v_mul_f64 v[0:1], v[0:1], 0.5
	v_mul_f64 v[0:1], v[4:5], v[0:1]
	v_mul_f64 v[4:5], v[2:3], v[8:9]
	v_mul_f64 v[6:7], v[8:9], 0.5
	v_fma_f64 v[8:9], -v[6:7], v[4:5], 0.5
	v_fmac_f64_e32 v[4:5], v[4:5], v[8:9]
	v_fma_f64 v[12:13], -v[4:5], v[4:5], v[2:3]
	v_fmac_f64_e32 v[6:7], v[6:7], v[8:9]
	v_fmac_f64_e32 v[4:5], v[12:13], v[6:7]
	v_fma_f64 v[8:9], -v[4:5], v[4:5], v[2:3]
	v_fmac_f64_e32 v[4:5], v[8:9], v[6:7]
	v_mov_b32_e32 v6, 0xffffff80
	v_cndmask_b32_e32 v6, 0, v6, vcc
	v_ldexp_f64 v[4:5], v[4:5], v6
	v_mov_b32_e32 v6, 0x260
	v_cmp_class_f64_e32 vcc, v[2:3], v6
	v_cndmask_b32_e32 v3, v5, v3, vcc
	v_cndmask_b32_e32 v2, v4, v2, vcc
	v_div_scale_f64 v[4:5], s[28:29], v[2:3], v[2:3], v[0:1]
	v_rcp_f64_e32 v[6:7], v[4:5]
	v_fma_f64 v[8:9], -v[4:5], v[6:7], 1.0
	v_fmac_f64_e32 v[6:7], v[6:7], v[8:9]
	v_fma_f64 v[8:9], -v[4:5], v[6:7], 1.0
	v_fmac_f64_e32 v[6:7], v[6:7], v[8:9]
	v_div_scale_f64 v[8:9], vcc, v[0:1], v[2:3], v[0:1]
	v_mul_f64 v[12:13], v[8:9], v[6:7]
	v_fma_f64 v[4:5], -v[4:5], v[12:13], v[8:9]
	s_nop 1
	v_div_fmas_f64 v[4:5], v[4:5], v[6:7], v[12:13]
	v_div_fixup_f64 v[0:1], v[4:5], v[2:3], v[0:1]
.LBB8_659:
	s_or_b64 exec, exec, s[0:1]
	v_mul_lo_u32 v2, v10, s2
	v_ashrrev_i32_e32 v3, 31, v2
	v_mov_b32_e32 v5, s9
	v_add_co_u32_e32 v4, vcc, s8, v2
	v_mov_b32_e32 v2, 11
	v_addc_co_u32_e32 v5, vcc, v5, v3, vcc
	v_cmp_lt_i16_sdwa s[0:1], v14, v2 src0_sel:BYTE_0 src1_sel:DWORD
	s_and_b64 vcc, exec, s[0:1]
	s_cbranch_vccnz .LBB8_667
; %bb.660:
	v_mov_b32_e32 v2, 25
	v_cmp_gt_i16_sdwa s[0:1], v14, v2 src0_sel:BYTE_0 src1_sel:DWORD
	s_and_b64 vcc, exec, s[0:1]
	s_cbranch_vccz .LBB8_668
; %bb.661:
	v_mov_b32_e32 v2, 28
	v_cmp_gt_i16_sdwa s[0:1], v14, v2 src0_sel:BYTE_0 src1_sel:DWORD
	s_and_b64 vcc, exec, s[0:1]
	s_cbranch_vccz .LBB8_669
	;; [unrolled: 5-line block ×4, first 2 shown]
; %bb.664:
	v_mov_b32_e32 v2, 46
	v_cmp_eq_u16_sdwa s[28:29], v14, v2 src0_sel:BYTE_0 src1_sel:DWORD
	s_mov_b64 s[30:31], 0
	s_mov_b64 s[0:1], -1
	s_and_b64 vcc, exec, s[28:29]
	s_mov_b64 s[28:29], 0
	s_cbranch_vccz .LBB8_672
; %bb.665:
	v_cvt_f32_f64_e32 v2, v[0:1]
	v_bfe_u32 v3, v2, 16, 1
	s_movk_i32 s0, 0x7fff
	v_add3_u32 v3, v2, v3, s0
	v_lshrrev_b32_e32 v3, 16, v3
	v_mov_b32_e32 v6, 0x7fc0
	v_cmp_o_f32_e32 vcc, v2, v2
	v_cndmask_b32_e32 v2, v6, v3, vcc
	global_store_dword v[4:5], v2, off
	s_mov_b64 s[28:29], -1
	s_mov_b64 s[0:1], 0
	s_branch .LBB8_672
.LBB8_666:
	s_mov_b64 s[30:31], 0
                                        ; implicit-def: $vgpr10
	s_mov_b64 s[0:1], s[20:21]
	s_branch .LBB8_783
.LBB8_667:
	s_mov_b64 s[30:31], -1
	s_mov_b64 s[28:29], 0
	s_mov_b64 s[0:1], s[20:21]
	s_branch .LBB8_741
.LBB8_668:
	s_mov_b64 s[30:31], -1
	s_mov_b64 s[28:29], 0
	s_mov_b64 s[0:1], s[20:21]
	s_branch .LBB8_699
.LBB8_669:
	s_mov_b64 s[30:31], -1
	s_mov_b64 s[28:29], 0
	s_mov_b64 s[0:1], s[20:21]
	s_branch .LBB8_682
.LBB8_670:
	s_mov_b64 s[30:31], -1
	s_mov_b64 s[28:29], 0
	s_mov_b64 s[0:1], s[20:21]
	s_branch .LBB8_678
.LBB8_671:
	s_mov_b64 s[30:31], -1
	s_mov_b64 s[28:29], 0
	s_mov_b64 s[0:1], s[20:21]
.LBB8_672:
	s_and_b64 vcc, exec, s[30:31]
	s_cbranch_vccz .LBB8_677
; %bb.673:
	v_mov_b32_e32 v2, 44
	v_cmp_eq_u16_sdwa s[30:31], v14, v2 src0_sel:BYTE_0 src1_sel:DWORD
	s_mov_b64 s[0:1], -1
	s_and_b64 vcc, exec, s[30:31]
	s_cbranch_vccz .LBB8_677
; %bb.674:
	v_cvt_f32_f64_e32 v2, v[0:1]
	v_bfe_u32 v3, v2, 23, 8
	s_movk_i32 s0, 0xff
	v_cmp_ne_u32_e32 vcc, s0, v3
	v_mov_b32_e32 v6, 0xff
	s_and_saveexec_b64 s[28:29], vcc
; %bb.675:
	s_mov_b32 s0, 0x3fffff
	v_lshrrev_b32_e32 v6, 23, v2
	v_and_b32_e32 v7, 0x400000, v2
	v_and_or_b32 v2, v2, s0, v3
	v_cmp_ne_u32_e32 vcc, 0, v7
	v_cmp_ne_u32_e64 s[0:1], 0, v2
	s_and_b64 s[0:1], vcc, s[0:1]
	v_cndmask_b32_e64 v2, 0, 1, s[0:1]
	v_add_u32_e32 v6, v6, v2
; %bb.676:
	s_or_b64 exec, exec, s[28:29]
	s_mov_b64 s[28:29], -1
	s_mov_b64 s[0:1], 0
	global_store_byte v[4:5], v6, off
.LBB8_677:
	s_mov_b64 s[30:31], 0
.LBB8_678:
	s_and_b64 vcc, exec, s[30:31]
	s_cbranch_vccz .LBB8_681
; %bb.679:
	v_mov_b32_e32 v2, 29
	v_cmp_eq_u16_sdwa s[30:31], v14, v2 src0_sel:BYTE_0 src1_sel:DWORD
	s_mov_b64 s[0:1], -1
	s_and_b64 vcc, exec, s[30:31]
	s_cbranch_vccz .LBB8_681
; %bb.680:
	v_trunc_f64_e32 v[2:3], v[0:1]
	s_movk_i32 s0, 0xffe0
	v_ldexp_f64 v[6:7], v[2:3], s0
	v_floor_f64_e32 v[6:7], v[6:7]
	v_fmac_f64_e32 v[2:3], 0xc1f00000, v[6:7]
	v_cvt_u32_f64_e32 v9, v[6:7]
	v_cvt_u32_f64_e32 v8, v[2:3]
	global_store_dwordx2 v[4:5], v[8:9], off
	s_mov_b64 s[28:29], -1
	s_mov_b64 s[0:1], 0
.LBB8_681:
	s_mov_b64 s[30:31], 0
.LBB8_682:
	s_and_b64 vcc, exec, s[30:31]
	s_cbranch_vccz .LBB8_698
; %bb.683:
	v_mov_b32_e32 v2, 27
	v_cmp_lt_i16_sdwa s[30:31], v14, v2 src0_sel:BYTE_0 src1_sel:DWORD
	s_mov_b64 s[28:29], -1
	s_and_b64 vcc, exec, s[30:31]
	s_cbranch_vccnz .LBB8_689
; %bb.684:
	v_cmp_gt_i16_sdwa s[30:31], v14, v2 src0_sel:BYTE_0 src1_sel:DWORD
	s_and_b64 vcc, exec, s[30:31]
	v_cvt_u32_f64_e32 v2, v[0:1]
	s_cbranch_vccz .LBB8_686
; %bb.685:
	s_mov_b64 s[28:29], 0
	global_store_dword v[4:5], v2, off
.LBB8_686:
	s_andn2_b64 vcc, exec, s[28:29]
	s_cbranch_vccnz .LBB8_688
; %bb.687:
	global_store_short v[4:5], v2, off
.LBB8_688:
	s_mov_b64 s[28:29], 0
.LBB8_689:
	s_andn2_b64 vcc, exec, s[28:29]
	s_cbranch_vccnz .LBB8_697
; %bb.690:
	v_cvt_f32_f64_e32 v2, v[0:1]
	v_and_b32_e32 v3, 0x7fffffff, v2
	s_mov_b32 s28, 0x43800000
	v_cmp_gt_u32_e32 vcc, s28, v3
	v_mov_b32_e32 v6, 0x80
	s_and_saveexec_b64 s[28:29], vcc
	s_cbranch_execz .LBB8_696
; %bb.691:
	s_mov_b32 s30, 0x3bffffff
	v_cmp_lt_u32_e32 vcc, s30, v3
	s_mov_b64 s[30:31], 0
                                        ; implicit-def: $vgpr3
	s_and_saveexec_b64 s[34:35], vcc
	s_xor_b64 s[34:35], exec, s[34:35]
	s_cbranch_execz .LBB8_797
; %bb.692:
	v_bfe_u32 v3, v2, 20, 1
	s_mov_b32 s36, 0x487ffff
	v_add3_u32 v3, v2, v3, s36
	s_mov_b64 s[30:31], exec
	v_lshrrev_b32_e32 v3, 20, v3
	s_or_saveexec_b64 s[34:35], s[34:35]
                                        ; implicit-def: $sgpr36
	s_xor_b64 exec, exec, s[34:35]
	s_cbranch_execnz .LBB8_798
.LBB8_693:
	s_or_b64 exec, exec, s[34:35]
	v_mov_b32_e32 v6, s36
	s_and_saveexec_b64 s[34:35], s[30:31]
.LBB8_694:
	v_lshrrev_b32_e32 v2, 24, v2
	s_movk_i32 s30, 0x80
	v_and_or_b32 v6, v2, s30, v3
.LBB8_695:
	s_or_b64 exec, exec, s[34:35]
.LBB8_696:
	s_or_b64 exec, exec, s[28:29]
	global_store_byte v[4:5], v6, off
.LBB8_697:
	s_mov_b64 s[28:29], -1
.LBB8_698:
	s_mov_b64 s[30:31], 0
.LBB8_699:
	s_and_b64 vcc, exec, s[30:31]
	s_cbranch_vccz .LBB8_740
; %bb.700:
	v_mov_b32_e32 v2, 22
	v_cmp_gt_i16_sdwa s[34:35], v14, v2 src0_sel:BYTE_0 src1_sel:DWORD
	s_mov_b64 s[30:31], -1
	s_and_b64 vcc, exec, s[34:35]
	s_cbranch_vccz .LBB8_732
; %bb.701:
	v_mov_b32_e32 v2, 24
	v_cmp_lt_i16_sdwa s[30:31], v14, v2 src0_sel:BYTE_0 src1_sel:DWORD
	s_mov_b64 s[28:29], -1
	s_and_b64 vcc, exec, s[30:31]
	s_cbranch_vccnz .LBB8_721
; %bb.702:
	v_cmp_gt_i16_sdwa s[30:31], v14, v2 src0_sel:BYTE_0 src1_sel:DWORD
	s_and_b64 vcc, exec, s[30:31]
	s_cbranch_vccz .LBB8_710
; %bb.703:
	v_cvt_f32_f64_e32 v2, v[0:1]
	v_and_b32_e32 v3, 0x7fffffff, v2
	s_mov_b32 s28, 0x47800000
	v_cmp_gt_u32_e32 vcc, s28, v3
	v_mov_b32_e32 v6, 0x80
	s_and_saveexec_b64 s[28:29], vcc
	s_cbranch_execz .LBB8_709
; %bb.704:
	s_mov_b32 s30, 0x37ffffff
	v_cmp_lt_u32_e32 vcc, s30, v3
	s_mov_b64 s[30:31], 0
                                        ; implicit-def: $vgpr3
	s_and_saveexec_b64 s[34:35], vcc
	s_xor_b64 s[34:35], exec, s[34:35]
	s_cbranch_execz .LBB8_800
; %bb.705:
	v_bfe_u32 v3, v2, 21, 1
	s_mov_b32 s36, 0x88fffff
	v_add3_u32 v3, v2, v3, s36
	s_mov_b64 s[30:31], exec
	v_lshrrev_b32_e32 v3, 21, v3
	s_or_saveexec_b64 s[34:35], s[34:35]
                                        ; implicit-def: $sgpr36
	s_xor_b64 exec, exec, s[34:35]
	s_cbranch_execnz .LBB8_801
.LBB8_706:
	s_or_b64 exec, exec, s[34:35]
	v_mov_b32_e32 v6, s36
	s_and_saveexec_b64 s[34:35], s[30:31]
.LBB8_707:
	v_lshrrev_b32_e32 v2, 24, v2
	s_movk_i32 s30, 0x80
	v_and_or_b32 v6, v2, s30, v3
.LBB8_708:
	s_or_b64 exec, exec, s[34:35]
.LBB8_709:
	s_or_b64 exec, exec, s[28:29]
	s_mov_b64 s[28:29], 0
	global_store_byte v[4:5], v6, off
.LBB8_710:
	s_and_b64 vcc, exec, s[28:29]
	s_cbranch_vccz .LBB8_720
; %bb.711:
	v_cvt_f32_f64_e32 v2, v[0:1]
	v_and_b32_e32 v6, 0x7fffffff, v2
	s_mov_b32 s28, 0x43f00000
	v_cmp_gt_u32_e32 vcc, s28, v6
                                        ; implicit-def: $vgpr3
	s_and_saveexec_b64 s[28:29], vcc
	s_xor_b64 s[28:29], exec, s[28:29]
	s_cbranch_execz .LBB8_717
; %bb.712:
	s_mov_b32 s30, 0x3c7fffff
	v_cmp_lt_u32_e32 vcc, s30, v6
                                        ; implicit-def: $vgpr3
	s_and_saveexec_b64 s[30:31], vcc
	s_xor_b64 s[30:31], exec, s[30:31]
; %bb.713:
	v_bfe_u32 v3, v2, 20, 1
	s_mov_b32 s34, 0x407ffff
	v_add3_u32 v3, v2, v3, s34
	v_lshrrev_b32_e32 v6, 20, v3
	v_and_b32_e32 v3, 0xff00000, v3
	s_mov_b32 s34, 0x7f00000
	v_mov_b32_e32 v7, 0x7e
	v_cmp_ne_u32_e32 vcc, s34, v3
	v_cndmask_b32_e32 v3, v7, v6, vcc
; %bb.714:
	s_andn2_saveexec_b64 s[30:31], s[30:31]
; %bb.715:
	s_mov_b32 s34, 0x46800000
	v_add_f32_e64 v3, |v2|, s34
; %bb.716:
	s_or_b64 exec, exec, s[30:31]
                                        ; implicit-def: $vgpr6
.LBB8_717:
	s_andn2_saveexec_b64 s[28:29], s[28:29]
; %bb.718:
	s_mov_b32 s30, 0x7f800000
	v_mov_b32_e32 v3, 0x7e
	v_mov_b32_e32 v7, 0x7f
	v_cmp_lt_u32_e32 vcc, s30, v6
	v_cndmask_b32_e32 v3, v3, v7, vcc
; %bb.719:
	s_or_b64 exec, exec, s[28:29]
	v_lshrrev_b32_e32 v2, 24, v2
	s_movk_i32 s28, 0x80
	v_and_or_b32 v2, v2, s28, v3
	global_store_byte v[4:5], v2, off
.LBB8_720:
	s_mov_b64 s[28:29], 0
.LBB8_721:
	s_andn2_b64 vcc, exec, s[28:29]
	s_cbranch_vccnz .LBB8_731
; %bb.722:
	v_cvt_f32_f64_e32 v2, v[0:1]
	v_and_b32_e32 v6, 0x7fffffff, v2
	s_mov_b32 s28, 0x47800000
	v_cmp_gt_u32_e32 vcc, s28, v6
                                        ; implicit-def: $vgpr3
	s_and_saveexec_b64 s[28:29], vcc
	s_xor_b64 s[28:29], exec, s[28:29]
	s_cbranch_execz .LBB8_728
; %bb.723:
	s_mov_b32 s30, 0x387fffff
	v_cmp_lt_u32_e32 vcc, s30, v6
                                        ; implicit-def: $vgpr3
	s_and_saveexec_b64 s[30:31], vcc
	s_xor_b64 s[30:31], exec, s[30:31]
; %bb.724:
	v_bfe_u32 v3, v2, 21, 1
	s_mov_b32 s34, 0x80fffff
	v_add3_u32 v3, v2, v3, s34
	v_lshrrev_b32_e32 v3, 21, v3
; %bb.725:
	s_andn2_saveexec_b64 s[30:31], s[30:31]
; %bb.726:
	s_mov_b32 s34, 0x43000000
	v_add_f32_e64 v3, |v2|, s34
; %bb.727:
	s_or_b64 exec, exec, s[30:31]
                                        ; implicit-def: $vgpr6
.LBB8_728:
	s_andn2_saveexec_b64 s[28:29], s[28:29]
; %bb.729:
	s_mov_b32 s30, 0x7f800000
	v_mov_b32_e32 v3, 0x7c
	v_mov_b32_e32 v7, 0x7f
	v_cmp_lt_u32_e32 vcc, s30, v6
	v_cndmask_b32_e32 v3, v3, v7, vcc
; %bb.730:
	s_or_b64 exec, exec, s[28:29]
	v_lshrrev_b32_e32 v2, 24, v2
	s_movk_i32 s28, 0x80
	v_and_or_b32 v2, v2, s28, v3
	global_store_byte v[4:5], v2, off
.LBB8_731:
	s_mov_b64 s[30:31], 0
	s_mov_b64 s[28:29], -1
.LBB8_732:
	s_andn2_b64 vcc, exec, s[30:31]
	s_cbranch_vccnz .LBB8_740
; %bb.733:
	v_mov_b32_e32 v2, 14
	v_cmp_gt_i16_sdwa s[34:35], v14, v2 src0_sel:BYTE_0 src1_sel:DWORD
	s_mov_b64 s[30:31], -1
	s_and_b64 vcc, exec, s[34:35]
	s_cbranch_vccz .LBB8_737
; %bb.734:
	v_mov_b32_e32 v2, 15
	v_cmp_eq_u16_sdwa s[30:31], v14, v2 src0_sel:BYTE_0 src1_sel:DWORD
	s_mov_b64 s[0:1], -1
	s_and_b64 vcc, exec, s[30:31]
	s_cbranch_vccz .LBB8_736
; %bb.735:
	v_cvt_f32_f64_e32 v2, v[0:1]
	v_bfe_u32 v3, v2, 16, 1
	s_movk_i32 s0, 0x7fff
	v_add3_u32 v3, v2, v3, s0
	v_lshrrev_b32_e32 v3, 16, v3
	v_mov_b32_e32 v6, 0x7fc0
	v_cmp_o_f32_e32 vcc, v2, v2
	v_cndmask_b32_e32 v2, v6, v3, vcc
	global_store_short v[4:5], v2, off
	s_mov_b64 s[28:29], -1
	s_mov_b64 s[0:1], 0
.LBB8_736:
	s_mov_b64 s[30:31], 0
.LBB8_737:
	s_and_b64 vcc, exec, s[30:31]
	s_cbranch_vccz .LBB8_740
; %bb.738:
	v_mov_b32_e32 v2, 11
	v_cmp_eq_u16_sdwa s[30:31], v14, v2 src0_sel:BYTE_0 src1_sel:DWORD
	s_mov_b64 s[0:1], -1
	s_and_b64 vcc, exec, s[30:31]
	s_cbranch_vccz .LBB8_740
; %bb.739:
	v_cmp_neq_f64_e32 vcc, 0, v[0:1]
	s_mov_b64 s[0:1], 0
	v_cndmask_b32_e64 v2, 0, 1, vcc
	s_mov_b64 s[28:29], -1
	global_store_byte v[4:5], v2, off
.LBB8_740:
	s_mov_b64 s[30:31], 0
.LBB8_741:
	s_and_b64 vcc, exec, s[30:31]
	s_cbranch_vccz .LBB8_780
; %bb.742:
	v_mov_b32_e32 v2, 5
	v_cmp_lt_i16_sdwa s[30:31], v14, v2 src0_sel:BYTE_0 src1_sel:DWORD
	s_mov_b64 s[28:29], -1
	s_and_b64 vcc, exec, s[30:31]
	s_cbranch_vccnz .LBB8_763
; %bb.743:
	v_mov_b32_e32 v2, 8
	v_cmp_lt_i16_sdwa s[30:31], v14, v2 src0_sel:BYTE_0 src1_sel:DWORD
	s_and_b64 vcc, exec, s[30:31]
	s_cbranch_vccnz .LBB8_753
; %bb.744:
	v_mov_b32_e32 v2, 9
	v_cmp_lt_i16_sdwa s[30:31], v14, v2 src0_sel:BYTE_0 src1_sel:DWORD
	s_and_b64 vcc, exec, s[30:31]
	s_cbranch_vccnz .LBB8_750
; %bb.745:
	v_cmp_gt_i16_sdwa s[30:31], v14, v2 src0_sel:BYTE_0 src1_sel:DWORD
	s_and_b64 vcc, exec, s[30:31]
	s_cbranch_vccz .LBB8_747
; %bb.746:
	v_mov_b32_e32 v2, 0
	v_mov_b32_e32 v3, v2
	s_mov_b64 s[28:29], 0
	global_store_dwordx4 v[4:5], v[0:3], off
.LBB8_747:
	s_andn2_b64 vcc, exec, s[28:29]
	s_cbranch_vccnz .LBB8_749
; %bb.748:
	v_cvt_f32_f64_e32 v2, v[0:1]
	v_mov_b32_e32 v3, 0
	global_store_dwordx2 v[4:5], v[2:3], off
.LBB8_749:
	s_mov_b64 s[28:29], 0
.LBB8_750:
	s_andn2_b64 vcc, exec, s[28:29]
	s_cbranch_vccnz .LBB8_752
; %bb.751:
	v_cvt_f32_f64_e32 v2, v[0:1]
	v_cvt_f16_f32_e32 v2, v2
	global_store_dword v[4:5], v2, off
.LBB8_752:
	s_mov_b64 s[28:29], 0
.LBB8_753:
	s_andn2_b64 vcc, exec, s[28:29]
	s_cbranch_vccnz .LBB8_762
; %bb.754:
	v_mov_b32_e32 v2, 6
	v_cmp_lt_i16_sdwa s[30:31], v14, v2 src0_sel:BYTE_0 src1_sel:DWORD
	s_mov_b64 s[28:29], -1
	s_and_b64 vcc, exec, s[30:31]
	s_cbranch_vccnz .LBB8_760
; %bb.755:
	v_cmp_gt_i16_sdwa s[30:31], v14, v2 src0_sel:BYTE_0 src1_sel:DWORD
	s_and_b64 vcc, exec, s[30:31]
	s_cbranch_vccz .LBB8_757
; %bb.756:
	s_mov_b64 s[28:29], 0
	global_store_dwordx2 v[4:5], v[0:1], off
.LBB8_757:
	s_andn2_b64 vcc, exec, s[28:29]
	s_cbranch_vccnz .LBB8_759
; %bb.758:
	v_cvt_f32_f64_e32 v2, v[0:1]
	global_store_dword v[4:5], v2, off
.LBB8_759:
	s_mov_b64 s[28:29], 0
.LBB8_760:
	s_andn2_b64 vcc, exec, s[28:29]
	s_cbranch_vccnz .LBB8_762
; %bb.761:
	v_cvt_f32_f64_e32 v2, v[0:1]
	v_cvt_f16_f32_e32 v2, v2
	global_store_short v[4:5], v2, off
.LBB8_762:
	s_mov_b64 s[28:29], 0
.LBB8_763:
	s_andn2_b64 vcc, exec, s[28:29]
	s_cbranch_vccnz .LBB8_779
; %bb.764:
	v_mov_b32_e32 v2, 2
	v_cmp_lt_i16_sdwa s[30:31], v14, v2 src0_sel:BYTE_0 src1_sel:DWORD
	s_mov_b64 s[28:29], -1
	s_and_b64 vcc, exec, s[30:31]
	s_cbranch_vccnz .LBB8_774
; %bb.765:
	v_mov_b32_e32 v2, 3
	v_cmp_lt_i16_sdwa s[30:31], v14, v2 src0_sel:BYTE_0 src1_sel:DWORD
	s_and_b64 vcc, exec, s[30:31]
	s_cbranch_vccnz .LBB8_771
; %bb.766:
	v_cmp_gt_i16_sdwa s[30:31], v14, v2 src0_sel:BYTE_0 src1_sel:DWORD
	s_and_b64 vcc, exec, s[30:31]
	s_cbranch_vccz .LBB8_768
; %bb.767:
	v_trunc_f64_e32 v[2:3], v[0:1]
	s_movk_i32 s28, 0xffe0
	v_ldexp_f64 v[6:7], v[2:3], s28
	v_floor_f64_e32 v[6:7], v[6:7]
	v_fmac_f64_e32 v[2:3], 0xc1f00000, v[6:7]
	v_cvt_i32_f64_e32 v9, v[6:7]
	v_cvt_u32_f64_e32 v8, v[2:3]
	s_mov_b64 s[28:29], 0
	global_store_dwordx2 v[4:5], v[8:9], off
.LBB8_768:
	s_andn2_b64 vcc, exec, s[28:29]
	s_cbranch_vccnz .LBB8_770
; %bb.769:
	v_cvt_i32_f64_e32 v2, v[0:1]
	global_store_dword v[4:5], v2, off
.LBB8_770:
	s_mov_b64 s[28:29], 0
.LBB8_771:
	s_andn2_b64 vcc, exec, s[28:29]
	s_cbranch_vccnz .LBB8_773
; %bb.772:
	v_cvt_i32_f64_e32 v2, v[0:1]
	global_store_short v[4:5], v2, off
.LBB8_773:
	s_mov_b64 s[28:29], 0
.LBB8_774:
	s_andn2_b64 vcc, exec, s[28:29]
	s_cbranch_vccnz .LBB8_779
; %bb.775:
	v_mov_b32_e32 v2, 0
	v_cmp_gt_i16_sdwa s[30:31], v14, v2 src0_sel:BYTE_0 src1_sel:DWORD
	s_mov_b64 s[28:29], -1
	s_and_b64 vcc, exec, s[30:31]
	s_cbranch_vccz .LBB8_777
; %bb.776:
	v_cvt_i32_f64_e32 v2, v[0:1]
	s_mov_b64 s[28:29], 0
	global_store_byte v[4:5], v2, off
.LBB8_777:
	s_andn2_b64 vcc, exec, s[28:29]
	s_cbranch_vccnz .LBB8_779
; %bb.778:
	v_trunc_f64_e32 v[0:1], v[0:1]
	s_movk_i32 s28, 0xffe0
	v_ldexp_f64 v[2:3], v[0:1], s28
	v_floor_f64_e32 v[2:3], v[2:3]
	v_fmac_f64_e32 v[0:1], 0xc1f00000, v[2:3]
	v_cvt_u32_f64_e32 v0, v[0:1]
	global_store_byte v[4:5], v0, off
.LBB8_779:
	s_mov_b64 s[28:29], -1
.LBB8_780:
	s_andn2_b64 vcc, exec, s[28:29]
	s_cbranch_vccnz .LBB8_782
; %bb.781:
	v_add_u32_e32 v10, 0x80, v10
	s_mov_b64 s[30:31], -1
	s_branch .LBB8_783
.LBB8_782:
	s_mov_b64 s[30:31], 0
                                        ; implicit-def: $vgpr10
.LBB8_783:
	s_andn2_b64 s[28:29], s[20:21], exec
	s_and_b64 s[0:1], s[0:1], exec
	s_or_b64 s[28:29], s[28:29], s[0:1]
	s_andn2_b64 s[0:1], s[18:19], exec
	s_and_b64 s[26:27], s[26:27], exec
	s_or_b64 s[0:1], s[0:1], s[26:27]
	s_orn2_b64 s[34:35], s[30:31], exec
.LBB8_784:
	s_or_b64 exec, exec, s[24:25]
	s_mov_b64 s[30:31], 0
	s_mov_b64 s[26:27], 0
	s_mov_b64 s[36:37], 0
                                        ; implicit-def: $vgpr0_vgpr1
                                        ; implicit-def: $vgpr2_vgpr3
	s_and_saveexec_b64 s[24:25], s[34:35]
	s_cbranch_execz .LBB8_869
; %bb.785:
	v_cmp_gt_i32_e32 vcc, s33, v10
	s_mov_b64 s[34:35], 0
	s_mov_b64 s[38:39], s[0:1]
	s_mov_b64 s[40:41], 0
                                        ; implicit-def: $vgpr0_vgpr1
                                        ; implicit-def: $vgpr2_vgpr3
	s_and_saveexec_b64 s[26:27], vcc
	s_cbranch_execz .LBB8_868
; %bb.786:
	v_mul_lo_u32 v0, v10, s3
	v_ashrrev_i32_e32 v1, 31, v0
	s_waitcnt vmcnt(0)
	v_mov_b32_e32 v2, s11
	v_add_co_u32_e32 v0, vcc, s10, v0
	v_addc_co_u32_e32 v1, vcc, v2, v1, vcc
	v_cmp_gt_i16_e32 vcc, 11, v11
	s_cbranch_vccnz .LBB8_793
; %bb.787:
	v_cmp_lt_i16_e32 vcc, 25, v11
	s_cbranch_vccz .LBB8_794
; %bb.788:
	v_cmp_lt_i16_e32 vcc, 28, v11
	s_cbranch_vccz .LBB8_795
	;; [unrolled: 3-line block ×4, first 2 shown]
; %bb.791:
	v_cmp_eq_u16_e32 vcc, 46, v11
	s_mov_b64 s[38:39], 0
	s_cbranch_vccz .LBB8_802
; %bb.792:
	global_load_dword v2, v[0:1], off
	s_mov_b64 s[36:37], -1
	s_waitcnt vmcnt(0)
	v_lshlrev_b32_e32 v2, 16, v2
	v_cvt_f64_f32_e32 v[2:3], v2
	s_branch .LBB8_804
.LBB8_793:
	s_mov_b64 s[38:39], -1
                                        ; implicit-def: $vgpr2_vgpr3
	s_mov_b64 s[30:31], s[0:1]
	s_branch .LBB8_867
.LBB8_794:
	s_mov_b64 s[38:39], -1
	s_mov_b64 s[30:31], s[0:1]
                                        ; implicit-def: $vgpr2_vgpr3
	s_branch .LBB8_833
.LBB8_795:
	s_mov_b64 s[38:39], -1
	s_mov_b64 s[30:31], s[0:1]
                                        ; implicit-def: $vgpr2_vgpr3
	s_branch .LBB8_814
.LBB8_796:
	s_mov_b64 s[38:39], -1
	s_mov_b64 s[30:31], s[0:1]
                                        ; implicit-def: $vgpr2_vgpr3
	s_branch .LBB8_809
.LBB8_797:
	s_or_saveexec_b64 s[34:35], s[34:35]
                                        ; implicit-def: $sgpr36
	s_xor_b64 exec, exec, s[34:35]
	s_cbranch_execz .LBB8_693
.LBB8_798:
	s_mov_b32 s36, 0x46000000
	v_add_f32_e64 v3, |v2|, s36
	v_and_b32_e32 v3, 0xff, v3
	v_cmp_ne_u32_e32 vcc, 0, v3
	s_andn2_b64 s[30:31], s[30:31], exec
	s_and_b64 s[38:39], vcc, exec
	s_mov_b32 s36, 0
	s_or_b64 s[30:31], s[30:31], s[38:39]
	s_or_b64 exec, exec, s[34:35]
	v_mov_b32_e32 v6, s36
	s_and_saveexec_b64 s[34:35], s[30:31]
	s_cbranch_execnz .LBB8_694
	s_branch .LBB8_695
.LBB8_799:
	s_mov_b64 s[38:39], -1
	s_mov_b64 s[30:31], s[0:1]
	s_branch .LBB8_803
.LBB8_800:
	s_or_saveexec_b64 s[34:35], s[34:35]
                                        ; implicit-def: $sgpr36
	s_xor_b64 exec, exec, s[34:35]
	s_cbranch_execz .LBB8_706
.LBB8_801:
	s_mov_b32 s36, 0x42800000
	v_add_f32_e64 v3, |v2|, s36
	v_and_b32_e32 v3, 0xff, v3
	v_cmp_ne_u32_e32 vcc, 0, v3
	s_andn2_b64 s[30:31], s[30:31], exec
	s_and_b64 s[38:39], vcc, exec
	s_mov_b32 s36, 0
	s_or_b64 s[30:31], s[30:31], s[38:39]
	s_or_b64 exec, exec, s[34:35]
	v_mov_b32_e32 v6, s36
	s_and_saveexec_b64 s[34:35], s[30:31]
	s_cbranch_execnz .LBB8_707
	s_branch .LBB8_708
.LBB8_802:
	s_mov_b64 s[30:31], -1
.LBB8_803:
                                        ; implicit-def: $vgpr2_vgpr3
.LBB8_804:
	s_and_b64 vcc, exec, s[38:39]
	s_cbranch_vccz .LBB8_808
; %bb.805:
	v_cmp_eq_u16_e32 vcc, 44, v11
	s_cbranch_vccz .LBB8_807
; %bb.806:
	global_load_ubyte v4, v[0:1], off
	s_movk_i32 s33, 0xff
	v_bfrev_b32_e32 v5, 4
	v_mov_b32_e32 v6, 0x7ff80000
	v_bfrev_b32_e32 v7, 28
	s_mov_b64 s[30:31], 0
	s_mov_b64 s[36:37], -1
	s_waitcnt vmcnt(0)
	v_lshlrev_b32_e32 v2, 23, v4
	v_cvt_f64_f32_e32 v[2:3], v2
	v_cmp_ne_u32_e32 vcc, s33, v4
	v_cndmask_b32_e32 v2, v5, v2, vcc
	v_cndmask_b32_e32 v3, v6, v3, vcc
	v_cmp_ne_u32_e32 vcc, 0, v4
	v_cndmask_b32_e32 v3, v7, v3, vcc
	v_cndmask_b32_e32 v2, 0, v2, vcc
	s_branch .LBB8_808
.LBB8_807:
	s_mov_b64 s[30:31], -1
                                        ; implicit-def: $vgpr2_vgpr3
.LBB8_808:
	s_mov_b64 s[38:39], 0
.LBB8_809:
	s_and_b64 vcc, exec, s[38:39]
	s_cbranch_vccz .LBB8_813
; %bb.810:
	v_cmp_eq_u16_e32 vcc, 29, v11
	s_cbranch_vccz .LBB8_812
; %bb.811:
	global_load_dwordx2 v[2:3], v[0:1], off
	s_mov_b64 s[30:31], 0
	s_mov_b64 s[36:37], -1
	s_mov_b64 s[38:39], 0
	s_waitcnt vmcnt(0)
	v_cvt_f64_u32_e32 v[4:5], v3
	v_cvt_f64_u32_e32 v[2:3], v2
	v_ldexp_f64 v[4:5], v[4:5], 32
	v_add_f64 v[2:3], v[4:5], v[2:3]
	s_branch .LBB8_814
.LBB8_812:
	s_mov_b64 s[30:31], -1
                                        ; implicit-def: $vgpr2_vgpr3
.LBB8_813:
	s_mov_b64 s[38:39], 0
.LBB8_814:
	s_and_b64 vcc, exec, s[38:39]
	s_cbranch_vccz .LBB8_832
; %bb.815:
	v_cmp_gt_i16_e32 vcc, 27, v11
	s_cbranch_vccnz .LBB8_818
; %bb.816:
	v_cmp_lt_i16_e32 vcc, 27, v11
	s_cbranch_vccz .LBB8_819
; %bb.817:
	global_load_dword v2, v[0:1], off
	s_mov_b64 s[36:37], 0
	s_waitcnt vmcnt(0)
	v_cvt_f64_u32_e32 v[2:3], v2
	s_branch .LBB8_820
.LBB8_818:
	s_mov_b64 s[36:37], -1
                                        ; implicit-def: $vgpr2_vgpr3
	s_branch .LBB8_823
.LBB8_819:
	s_mov_b64 s[36:37], -1
                                        ; implicit-def: $vgpr2_vgpr3
.LBB8_820:
	s_andn2_b64 vcc, exec, s[36:37]
	s_cbranch_vccnz .LBB8_822
; %bb.821:
	global_load_ushort v2, v[0:1], off
	s_waitcnt vmcnt(0)
	v_cvt_f64_u32_e32 v[2:3], v2
.LBB8_822:
	s_mov_b64 s[36:37], 0
.LBB8_823:
	s_andn2_b64 vcc, exec, s[36:37]
	s_cbranch_vccnz .LBB8_831
; %bb.824:
	global_load_ubyte v4, v[0:1], off
	s_movk_i32 s33, 0x7f
	s_mov_b64 s[36:37], 0
                                        ; implicit-def: $sgpr38_sgpr39
	s_waitcnt vmcnt(0)
	v_cmp_lt_i16_e32 vcc, s33, v4
	s_and_saveexec_b64 s[40:41], vcc
	s_xor_b64 s[40:41], exec, s[40:41]
	s_cbranch_execz .LBB8_845
; %bb.825:
	s_movk_i32 s33, 0x80
	v_cmp_eq_u16_e32 vcc, s33, v4
	s_mov_b64 s[42:43], -1
                                        ; implicit-def: $sgpr38_sgpr39
	s_and_saveexec_b64 s[36:37], vcc
; %bb.826:
	s_mov_b32 s39, 0x7ff80000
	s_brev_b32 s38, 4
	s_xor_b64 s[42:43], exec, -1
; %bb.827:
	s_or_b64 exec, exec, s[36:37]
	s_and_b64 s[36:37], s[42:43], exec
	s_or_saveexec_b64 s[40:41], s[40:41]
	v_pk_mov_b32 v[2:3], s[38:39], s[38:39] op_sel:[0,1]
	s_xor_b64 exec, exec, s[40:41]
	s_cbranch_execnz .LBB8_846
.LBB8_828:
	s_or_b64 exec, exec, s[40:41]
	s_and_saveexec_b64 s[38:39], s[36:37]
	s_cbranch_execz .LBB8_830
.LBB8_829:
	v_and_b32_e32 v3, 0xffff, v4
	v_lshlrev_b32_e32 v2, 24, v4
	v_and_b32_e32 v4, 7, v3
	v_ffbh_u32_e32 v6, v4
	v_min_u32_e32 v6, 32, v6
	v_subrev_u32_e32 v7, 28, v6
	v_bfe_u32 v5, v3, 3, 4
	v_lshlrev_b32_e32 v3, v7, v3
	v_sub_u32_e32 v6, 29, v6
	v_and_b32_e32 v3, 7, v3
	v_cmp_eq_u32_e32 vcc, 0, v5
	v_cndmask_b32_e32 v5, v5, v6, vcc
	v_cndmask_b32_e32 v3, v4, v3, vcc
	v_mov_b32_e32 v4, 0x3b800000
	v_lshlrev_b32_e32 v3, 20, v3
	v_and_b32_e32 v2, 0x80000000, v2
	v_lshl_add_u32 v4, v5, 23, v4
	v_or3_b32 v2, v2, v4, v3
	v_cvt_f64_f32_e32 v[2:3], v2
.LBB8_830:
	s_or_b64 exec, exec, s[38:39]
.LBB8_831:
	s_mov_b64 s[36:37], -1
.LBB8_832:
	s_mov_b64 s[38:39], 0
.LBB8_833:
	s_and_b64 vcc, exec, s[38:39]
	s_cbranch_vccz .LBB8_866
; %bb.834:
	v_cmp_lt_i16_e32 vcc, 22, v11
	s_cbranch_vccz .LBB8_844
; %bb.835:
	v_cmp_gt_i16_e32 vcc, 24, v11
	s_cbranch_vccnz .LBB8_847
; %bb.836:
	v_cmp_lt_i16_e32 vcc, 24, v11
	s_cbranch_vccz .LBB8_848
; %bb.837:
	global_load_ubyte v4, v[0:1], off
	s_movk_i32 s33, 0x7f
                                        ; implicit-def: $sgpr36_sgpr37
	s_waitcnt vmcnt(0)
	v_cmp_lt_i16_e32 vcc, s33, v4
	s_and_saveexec_b64 s[38:39], vcc
	s_xor_b64 s[38:39], exec, s[38:39]
	s_cbranch_execz .LBB8_860
; %bb.838:
	s_movk_i32 s33, 0x80
	v_cmp_eq_u16_e32 vcc, s33, v4
	s_mov_b64 s[40:41], -1
                                        ; implicit-def: $sgpr36_sgpr37
	s_and_saveexec_b64 s[34:35], vcc
; %bb.839:
	s_mov_b32 s37, 0x7ff80000
	s_brev_b32 s36, 4
	s_xor_b64 s[40:41], exec, -1
; %bb.840:
	s_or_b64 exec, exec, s[34:35]
	s_and_b64 s[34:35], s[40:41], exec
	s_or_saveexec_b64 s[38:39], s[38:39]
	v_pk_mov_b32 v[2:3], s[36:37], s[36:37] op_sel:[0,1]
	s_xor_b64 exec, exec, s[38:39]
	s_cbranch_execnz .LBB8_861
.LBB8_841:
	s_or_b64 exec, exec, s[38:39]
	s_and_saveexec_b64 s[36:37], s[34:35]
	s_cbranch_execz .LBB8_843
.LBB8_842:
	v_and_b32_e32 v3, 0xffff, v4
	v_lshlrev_b32_e32 v2, 24, v4
	v_and_b32_e32 v4, 3, v3
	v_ffbh_u32_e32 v6, v4
	v_min_u32_e32 v6, 32, v6
	v_subrev_u32_e32 v7, 29, v6
	v_bfe_u32 v5, v3, 2, 5
	v_lshlrev_b32_e32 v3, v7, v3
	v_sub_u32_e32 v6, 30, v6
	v_and_b32_e32 v3, 3, v3
	v_cmp_eq_u32_e32 vcc, 0, v5
	v_cndmask_b32_e32 v5, v5, v6, vcc
	v_cndmask_b32_e32 v3, v4, v3, vcc
	v_mov_b32_e32 v4, 0x37800000
	v_lshlrev_b32_e32 v3, 21, v3
	v_and_b32_e32 v2, 0x80000000, v2
	v_lshl_add_u32 v4, v5, 23, v4
	v_or3_b32 v2, v2, v4, v3
	v_cvt_f64_f32_e32 v[2:3], v2
.LBB8_843:
	s_or_b64 exec, exec, s[36:37]
	s_mov_b64 s[34:35], 0
	s_branch .LBB8_849
.LBB8_844:
	s_mov_b64 s[34:35], -1
                                        ; implicit-def: $vgpr2_vgpr3
	s_branch .LBB8_855
.LBB8_845:
	s_or_saveexec_b64 s[40:41], s[40:41]
	v_pk_mov_b32 v[2:3], s[38:39], s[38:39] op_sel:[0,1]
	s_xor_b64 exec, exec, s[40:41]
	s_cbranch_execz .LBB8_828
.LBB8_846:
	v_cmp_ne_u16_e32 vcc, 0, v4
	s_andn2_b64 s[36:37], s[36:37], exec
	s_and_b64 s[38:39], vcc, exec
	v_pk_mov_b32 v[2:3], 0, 0
	s_or_b64 s[36:37], s[36:37], s[38:39]
	s_or_b64 exec, exec, s[40:41]
	s_and_saveexec_b64 s[38:39], s[36:37]
	s_cbranch_execnz .LBB8_829
	s_branch .LBB8_830
.LBB8_847:
	s_mov_b64 s[34:35], -1
                                        ; implicit-def: $vgpr2_vgpr3
	s_branch .LBB8_852
.LBB8_848:
	s_mov_b64 s[34:35], -1
                                        ; implicit-def: $vgpr2_vgpr3
.LBB8_849:
	s_and_b64 vcc, exec, s[34:35]
	s_cbranch_vccz .LBB8_851
; %bb.850:
	global_load_ubyte v2, v[0:1], off
	s_mov_b32 s33, 0x7f800000
	s_waitcnt vmcnt(0)
	v_lshlrev_b32_e32 v2, 24, v2
	v_and_b32_e32 v3, 0x7f000000, v2
	v_ffbh_u32_e32 v4, v3
	v_min_u32_e32 v4, 32, v4
	v_sub_u32_e64 v4, v4, 4 clamp
	v_lshlrev_b32_e32 v6, v4, v3
	v_lshlrev_b32_e32 v4, 23, v4
	v_lshrrev_b32_e32 v6, 4, v6
	v_add_u32_e32 v5, 0x1000000, v3
	v_sub_u32_e32 v4, v6, v4
	v_ashrrev_i32_e32 v5, 8, v5
	v_add_u32_e32 v4, 0x3c000000, v4
	v_and_or_b32 v4, v5, s33, v4
	v_cmp_ne_u32_e32 vcc, 0, v3
	v_cndmask_b32_e32 v3, 0, v4, vcc
	s_brev_b32 s33, 1
	v_and_or_b32 v2, v2, s33, v3
	v_cvt_f64_f32_e32 v[2:3], v2
.LBB8_851:
	s_mov_b64 s[34:35], 0
.LBB8_852:
	s_andn2_b64 vcc, exec, s[34:35]
	s_cbranch_vccnz .LBB8_854
; %bb.853:
	global_load_ubyte v2, v[0:1], off
	s_movk_i32 s33, 0x7f00
	s_brev_b32 s34, 16
	s_waitcnt vmcnt(0)
	v_lshlrev_b16_e32 v3, 8, v2
	v_lshlrev_b32_e32 v2, 25, v2
	v_lshrrev_b32_e32 v4, 4, v2
	v_and_or_b32 v5, v3, s33, 0.5
	v_or_b32_e32 v4, 0x70000000, v4
	v_add_f32_e32 v5, -0.5, v5
	v_mul_f32_e32 v4, 0x7800000, v4
	v_cmp_gt_u32_e32 vcc, s34, v2
	v_bfe_i32 v3, v3, 0, 16
	v_cndmask_b32_e32 v2, v4, v5, vcc
	s_brev_b32 s33, 1
	v_and_or_b32 v2, v3, s33, v2
	v_cvt_f64_f32_e32 v[2:3], v2
.LBB8_854:
	s_mov_b64 s[34:35], 0
	s_mov_b64 s[36:37], -1
.LBB8_855:
	s_andn2_b64 vcc, exec, s[34:35]
	s_mov_b64 s[34:35], 0
	s_cbranch_vccnz .LBB8_866
; %bb.856:
	v_cmp_lt_i16_e32 vcc, 14, v11
	s_cbranch_vccz .LBB8_859
; %bb.857:
	v_cmp_eq_u16_e32 vcc, 15, v11
	s_cbranch_vccz .LBB8_862
; %bb.858:
	global_load_ushort v2, v[0:1], off
	s_mov_b64 s[30:31], 0
	s_mov_b64 s[36:37], -1
	s_waitcnt vmcnt(0)
	v_lshlrev_b32_e32 v2, 16, v2
	v_cvt_f64_f32_e32 v[2:3], v2
	s_branch .LBB8_863
.LBB8_859:
	s_mov_b64 s[38:39], -1
                                        ; implicit-def: $vgpr2_vgpr3
	s_branch .LBB8_864
.LBB8_860:
	s_or_saveexec_b64 s[38:39], s[38:39]
	v_pk_mov_b32 v[2:3], s[36:37], s[36:37] op_sel:[0,1]
	s_xor_b64 exec, exec, s[38:39]
	s_cbranch_execz .LBB8_841
.LBB8_861:
	v_cmp_ne_u16_e32 vcc, 0, v4
	s_andn2_b64 s[34:35], s[34:35], exec
	s_and_b64 s[36:37], vcc, exec
	v_pk_mov_b32 v[2:3], 0, 0
	s_or_b64 s[34:35], s[34:35], s[36:37]
	s_or_b64 exec, exec, s[38:39]
	s_and_saveexec_b64 s[36:37], s[34:35]
	s_cbranch_execnz .LBB8_842
	s_branch .LBB8_843
.LBB8_862:
	s_mov_b64 s[30:31], -1
                                        ; implicit-def: $vgpr2_vgpr3
.LBB8_863:
	s_mov_b64 s[38:39], 0
.LBB8_864:
	s_and_b64 vcc, exec, s[38:39]
	s_cbranch_vccz .LBB8_866
; %bb.865:
	v_cmp_ne_u16_e32 vcc, 11, v11
	s_andn2_b64 s[30:31], s[30:31], exec
	s_and_b64 s[38:39], vcc, exec
	s_mov_b64 s[34:35], -1
	s_or_b64 s[30:31], s[30:31], s[38:39]
                                        ; implicit-def: $vgpr2_vgpr3
.LBB8_866:
	s_mov_b64 s[38:39], 0
.LBB8_867:
	s_and_b64 s[40:41], s[38:39], exec
	s_andn2_b64 s[38:39], s[0:1], exec
	s_and_b64 s[30:31], s[30:31], exec
	s_and_b64 s[36:37], s[36:37], exec
	s_and_b64 s[34:35], s[34:35], exec
	s_or_b64 s[38:39], s[38:39], s[30:31]
.LBB8_868:
	s_or_b64 exec, exec, s[26:27]
	s_and_b64 s[30:31], s[34:35], exec
	s_andn2_b64 s[0:1], s[0:1], exec
	s_and_b64 s[34:35], s[38:39], exec
	s_and_b64 s[36:37], s[36:37], exec
	;; [unrolled: 1-line block ×3, first 2 shown]
	s_or_b64 s[0:1], s[0:1], s[34:35]
.LBB8_869:
	s_or_b64 exec, exec, s[24:25]
	s_andn2_b64 s[20:21], s[20:21], exec
	s_and_b64 s[24:25], s[28:29], exec
	s_andn2_b64 s[18:19], s[18:19], exec
	s_and_b64 s[0:1], s[0:1], exec
	s_or_b64 s[20:21], s[20:21], s[24:25]
	s_and_b64 s[28:29], s[36:37], exec
	s_and_b64 s[26:27], s[26:27], exec
	;; [unrolled: 1-line block ×3, first 2 shown]
	s_or_b64 s[18:19], s[18:19], s[0:1]
.LBB8_870:
	s_or_b64 exec, exec, s[22:23]
	s_andn2_b64 s[0:1], s[6:7], exec
	s_and_b64 s[6:7], s[20:21], exec
	s_andn2_b64 s[14:15], s[14:15], exec
	s_and_b64 s[18:19], s[18:19], exec
	s_or_b64 s[6:7], s[0:1], s[6:7]
	s_and_b64 s[0:1], s[28:29], exec
	s_and_b64 s[22:23], s[26:27], exec
	s_and_b64 s[20:21], s[24:25], exec
	s_or_b64 s[14:15], s[14:15], s[18:19]
	s_or_b64 exec, exec, s[16:17]
	s_mov_b64 s[16:17], 0
	s_and_saveexec_b64 s[18:19], s[14:15]
	s_cbranch_execz .LBB8_266
.LBB8_871:
	s_mov_b64 s[16:17], exec
	s_andn2_b64 s[20:21], s[20:21], exec
	s_trap 2
                                        ; implicit-def: $vgpr2_vgpr3
	s_or_b64 exec, exec, s[18:19]
	s_and_saveexec_b64 s[14:15], s[20:21]
	s_xor_b64 s[14:15], exec, s[14:15]
	s_cbranch_execnz .LBB8_267
.LBB8_872:
	s_or_b64 exec, exec, s[14:15]
	s_and_saveexec_b64 s[14:15], s[22:23]
	s_cbranch_execz .LBB8_918
.LBB8_873:
	v_cmp_gt_i16_e32 vcc, 5, v11
	s_cbranch_vccnz .LBB8_878
; %bb.874:
	v_cmp_gt_i16_e32 vcc, 8, v11
	s_cbranch_vccnz .LBB8_879
; %bb.875:
	;; [unrolled: 3-line block ×3, first 2 shown]
	v_cmp_lt_i16_e32 vcc, 9, v11
	s_cbranch_vccz .LBB8_881
; %bb.877:
	global_load_dwordx2 v[2:3], v[0:1], off
	s_mov_b64 s[18:19], 0
	s_branch .LBB8_882
.LBB8_878:
                                        ; implicit-def: $vgpr2_vgpr3
	s_branch .LBB8_899
.LBB8_879:
                                        ; implicit-def: $vgpr2_vgpr3
	s_branch .LBB8_888
.LBB8_880:
	s_mov_b64 s[18:19], -1
                                        ; implicit-def: $vgpr2_vgpr3
	s_branch .LBB8_885
.LBB8_881:
	s_mov_b64 s[18:19], -1
                                        ; implicit-def: $vgpr2_vgpr3
.LBB8_882:
	s_andn2_b64 vcc, exec, s[18:19]
	s_cbranch_vccnz .LBB8_884
; %bb.883:
	global_load_dword v2, v[0:1], off
	s_waitcnt vmcnt(0)
	v_cvt_f64_f32_e32 v[2:3], v2
.LBB8_884:
	s_mov_b64 s[18:19], 0
.LBB8_885:
	s_andn2_b64 vcc, exec, s[18:19]
	s_cbranch_vccnz .LBB8_887
; %bb.886:
	global_load_dword v2, v[0:1], off
	s_waitcnt vmcnt(0)
	v_cvt_f32_f16_e32 v2, v2
	v_cvt_f64_f32_e32 v[2:3], v2
.LBB8_887:
	s_cbranch_execnz .LBB8_898
.LBB8_888:
	v_cmp_gt_i16_e32 vcc, 6, v11
	s_cbranch_vccnz .LBB8_891
; %bb.889:
	v_cmp_lt_i16_e32 vcc, 6, v11
	s_cbranch_vccz .LBB8_892
; %bb.890:
	global_load_dwordx2 v[2:3], v[0:1], off
	s_mov_b64 s[18:19], 0
	s_branch .LBB8_893
.LBB8_891:
	s_mov_b64 s[18:19], -1
                                        ; implicit-def: $vgpr2_vgpr3
	s_branch .LBB8_896
.LBB8_892:
	s_mov_b64 s[18:19], -1
                                        ; implicit-def: $vgpr2_vgpr3
.LBB8_893:
	s_andn2_b64 vcc, exec, s[18:19]
	s_cbranch_vccnz .LBB8_895
; %bb.894:
	global_load_dword v2, v[0:1], off
	s_waitcnt vmcnt(0)
	v_cvt_f64_f32_e32 v[2:3], v2
.LBB8_895:
	s_mov_b64 s[18:19], 0
.LBB8_896:
	s_andn2_b64 vcc, exec, s[18:19]
	s_cbranch_vccnz .LBB8_898
; %bb.897:
	global_load_ushort v2, v[0:1], off
	s_waitcnt vmcnt(0)
	v_cvt_f32_f16_e32 v2, v2
	v_cvt_f64_f32_e32 v[2:3], v2
.LBB8_898:
	s_cbranch_execnz .LBB8_917
.LBB8_899:
	v_cmp_gt_i16_e32 vcc, 2, v11
	s_cbranch_vccnz .LBB8_903
; %bb.900:
	v_cmp_gt_i16_e32 vcc, 3, v11
	s_cbranch_vccnz .LBB8_904
; %bb.901:
	v_cmp_lt_i16_e32 vcc, 3, v11
	s_cbranch_vccz .LBB8_905
; %bb.902:
	global_load_dwordx2 v[2:3], v[0:1], off
	s_mov_b64 s[18:19], 0
	s_waitcnt vmcnt(0)
	v_cvt_f64_i32_e32 v[4:5], v3
	v_cvt_f64_u32_e32 v[2:3], v2
	v_ldexp_f64 v[4:5], v[4:5], 32
	v_add_f64 v[2:3], v[4:5], v[2:3]
	s_branch .LBB8_906
.LBB8_903:
                                        ; implicit-def: $vgpr2_vgpr3
	s_branch .LBB8_912
.LBB8_904:
	s_mov_b64 s[18:19], -1
                                        ; implicit-def: $vgpr2_vgpr3
	s_branch .LBB8_909
.LBB8_905:
	s_mov_b64 s[18:19], -1
                                        ; implicit-def: $vgpr2_vgpr3
.LBB8_906:
	s_andn2_b64 vcc, exec, s[18:19]
	s_cbranch_vccnz .LBB8_908
; %bb.907:
	global_load_dword v2, v[0:1], off
	s_waitcnt vmcnt(0)
	v_cvt_f64_i32_e32 v[2:3], v2
.LBB8_908:
	s_mov_b64 s[18:19], 0
.LBB8_909:
	s_andn2_b64 vcc, exec, s[18:19]
	s_cbranch_vccnz .LBB8_911
; %bb.910:
	global_load_sshort v2, v[0:1], off
	s_waitcnt vmcnt(0)
	v_cvt_f64_i32_e32 v[2:3], v2
.LBB8_911:
	s_cbranch_execnz .LBB8_917
.LBB8_912:
	v_cmp_lt_i16_e32 vcc, 0, v11
	s_cbranch_vccz .LBB8_914
; %bb.913:
	global_load_sbyte v2, v[0:1], off
	s_mov_b64 s[18:19], 0
	s_waitcnt vmcnt(0)
	v_cvt_f64_i32_e32 v[2:3], v2
	s_branch .LBB8_915
.LBB8_914:
	s_mov_b64 s[18:19], -1
                                        ; implicit-def: $vgpr2_vgpr3
.LBB8_915:
	s_andn2_b64 vcc, exec, s[18:19]
	s_cbranch_vccnz .LBB8_917
; %bb.916:
	global_load_ubyte v0, v[0:1], off
	s_waitcnt vmcnt(0)
	v_cvt_f64_u32_e32 v[2:3], v0
.LBB8_917:
	s_or_b64 s[0:1], s[0:1], exec
.LBB8_918:
	s_or_b64 exec, exec, s[14:15]
	s_mov_b64 s[20:21], 0
	s_mov_b64 s[18:19], 0
                                        ; implicit-def: $vgpr6
                                        ; implicit-def: $vgpr4_vgpr5
                                        ; implicit-def: $vgpr0_vgpr1
	s_and_saveexec_b64 s[14:15], s[0:1]
	s_cbranch_execz .LBB8_997
; %bb.919:
	s_mov_b32 s0, 0
	s_mov_b32 s1, 0x40200000
	s_waitcnt vmcnt(0)
	v_cmp_le_f64_e64 s[0:1], |v[2:3]|, s[0:1]
                                        ; implicit-def: $vgpr0_vgpr1
	s_and_saveexec_b64 s[18:19], s[0:1]
	s_xor_b64 s[0:1], exec, s[18:19]
	s_cbranch_execz .LBB8_921
; %bb.920:
	s_mov_b32 s18, 0x2134d0ef
	v_fma_f64 v[0:1], |v[2:3]|, 0.5, -2.0
	v_mov_b32_e32 v4, 0x977da589
	v_mov_b32_e32 v5, 0x3c833362
	s_mov_b32 s19, 0xbc545cb7
	v_fmac_f64_e32 v[4:5], s[18:19], v[0:1]
	v_mov_b32_e32 v6, 0x2134d0ef
	v_mov_b32_e32 v7, 0x3c545cb7
	s_mov_b32 s18, 0x721ebbb4
	v_fmac_f64_e32 v[6:7], v[0:1], v[4:5]
	s_mov_b32 s19, 0xbcb184eb
	v_add_f64 v[6:7], v[6:7], s[18:19]
	s_mov_b32 s18, 0x93f65eba
	v_fma_f64 v[4:5], v[0:1], v[6:7], -v[4:5]
	s_mov_b32 s19, 0x3cdee6d8
	v_add_f64 v[4:5], v[4:5], s[18:19]
	s_mov_b32 s18, 0xc297fbeb
	v_fma_f64 v[6:7], v[0:1], v[4:5], -v[6:7]
	;; [unrolled: 4-line block ×27, first 2 shown]
	s_mov_b32 s19, 0x3fe5a84e
	v_add_f64 v[0:1], v[0:1], s[18:19]
	s_mov_b32 s18, 0x652b82fe
	s_mov_b32 s19, 0x3ff71547
	v_mul_f64 v[6:7], |v[2:3]|, s[18:19]
	s_mov_b32 s18, 0xfefa39ef
	v_rndne_f64_e32 v[6:7], v[6:7]
	s_mov_b32 s19, 0xbfe62e42
	v_fma_f64 v[8:9], v[6:7], s[18:19], |v[2:3]|
	s_mov_b32 s18, 0x3b39803f
	s_mov_b32 s19, 0xbc7abc9e
	v_fmac_f64_e32 v[8:9], s[18:19], v[6:7]
	s_mov_b32 s18, 0x6a5dcb37
	v_mov_b32_e32 v12, 0xfca7ab0c
	v_mov_b32_e32 v13, 0x3e928af3
	s_mov_b32 s19, 0x3e5ade15
	v_fmac_f64_e32 v[12:13], s[18:19], v[8:9]
	v_mov_b32_e32 v16, 0x623fde64
	v_mov_b32_e32 v17, 0x3ec71dee
	v_fmac_f64_e32 v[16:17], v[8:9], v[12:13]
	v_mov_b32_e32 v12, 0x7c89e6b0
	v_mov_b32_e32 v13, 0x3efa0199
	;; [unrolled: 3-line block ×8, first 2 shown]
	v_fmac_f64_e32 v[12:13], v[8:9], v[16:17]
	v_fma_f64 v[12:13], v[8:9], v[12:13], 1.0
	s_mov_b32 s18, 0
	v_fma_f64 v[8:9], v[8:9], v[12:13], 1.0
	v_cvt_i32_f64_e32 v6, v[6:7]
	s_mov_b32 s19, 0x40900000
	v_ldexp_f64 v[6:7], v[8:9], v6
	v_mov_b32_e32 v8, 0x7ff00000
	v_cmp_ngt_f64_e64 vcc, |v[2:3]|, s[18:19]
	v_add_f64 v[0:1], v[0:1], -v[4:5]
	v_cndmask_b32_e32 v3, v8, v7, vcc
	v_cndmask_b32_e32 v2, 0, v6, vcc
	v_mul_f64 v[0:1], v[0:1], 0.5
	v_mul_f64 v[0:1], v[2:3], v[0:1]
                                        ; implicit-def: $vgpr2_vgpr3
.LBB8_921:
	s_andn2_saveexec_b64 s[0:1], s[0:1]
	s_cbranch_execz .LBB8_923
; %bb.922:
	s_mov_b32 s18, 0
	v_and_b32_e32 v1, 0x7fffffff, v3
	v_mov_b32_e32 v0, v2
	s_mov_b32 s19, 0x40400000
	v_div_scale_f64 v[4:5], s[20:21], v[0:1], v[0:1], s[18:19]
	v_rcp_f64_e32 v[6:7], v[4:5]
	v_div_scale_f64 v[0:1], vcc, s[18:19], v[0:1], s[18:19]
	v_mov_b32_e32 v12, 0xfca7ab0c
	v_fma_f64 v[8:9], -v[4:5], v[6:7], 1.0
	v_fmac_f64_e32 v[6:7], v[6:7], v[8:9]
	v_fma_f64 v[8:9], -v[4:5], v[6:7], 1.0
	v_fmac_f64_e32 v[6:7], v[6:7], v[8:9]
	v_mul_f64 v[8:9], v[0:1], v[6:7]
	v_fma_f64 v[0:1], -v[4:5], v[8:9], v[0:1]
	v_div_fmas_f64 v[0:1], v[0:1], v[6:7], v[8:9]
	v_div_fixup_f64 v[0:1], v[0:1], |v[2:3]|, s[18:19]
	s_mov_b32 s18, 0x54ca8b19
	v_add_f64 v[0:1], v[0:1], -2.0
	v_mov_b32_e32 v4, 0x66119130
	v_mov_b32_e32 v5, 0xbc5646da
	s_mov_b32 s19, 0xbc60adb7
	v_fmac_f64_e32 v[4:5], s[18:19], v[0:1]
	v_mov_b32_e32 v6, 0x54ca8b19
	v_mov_b32_e32 v7, 0x3c60adb7
	s_mov_b32 s18, 0x12d98421
	v_fmac_f64_e32 v[6:7], v[0:1], v[4:5]
	s_mov_b32 s19, 0x3c89be18
	v_add_f64 v[6:7], v[6:7], s[18:19]
	s_mov_b32 s18, 0x76041cd
	v_fma_f64 v[4:5], v[0:1], v[6:7], -v[4:5]
	s_mov_b32 s19, 0x3c83f3dd
	v_add_f64 v[4:5], v[4:5], s[18:19]
	s_mov_b32 s18, 0xabd21fe4
	v_fma_f64 v[6:7], v[0:1], v[4:5], -v[6:7]
	;; [unrolled: 4-line block ×22, first 2 shown]
	s_mov_b32 s19, 0x3fe9be62
	v_add_f64 v[0:1], v[0:1], s[18:19]
	s_mov_b32 s18, 0x652b82fe
	s_mov_b32 s19, 0x3ff71547
	v_mul_f64 v[4:5], |v[2:3]|, s[18:19]
	s_mov_b32 s18, 0xfefa39ef
	v_rndne_f64_e32 v[4:5], v[4:5]
	s_mov_b32 s19, 0xbfe62e42
	v_fma_f64 v[8:9], v[4:5], s[18:19], |v[2:3]|
	s_mov_b32 s18, 0x3b39803f
	s_mov_b32 s19, 0xbc7abc9e
	v_fmac_f64_e32 v[8:9], s[18:19], v[4:5]
	s_mov_b32 s18, 0x6a5dcb37
	v_mov_b32_e32 v13, 0x3e928af3
	s_mov_b32 s19, 0x3e5ade15
	v_fmac_f64_e32 v[12:13], s[18:19], v[8:9]
	v_mov_b32_e32 v16, 0x623fde64
	v_mov_b32_e32 v17, 0x3ec71dee
	v_fmac_f64_e32 v[16:17], v[8:9], v[12:13]
	v_mov_b32_e32 v12, 0x7c89e6b0
	v_mov_b32_e32 v13, 0x3efa0199
	;; [unrolled: 3-line block ×8, first 2 shown]
	v_fmac_f64_e32 v[12:13], v[8:9], v[16:17]
	s_mov_b32 s18, 0
	v_fma_f64 v[12:13], v[8:9], v[12:13], 1.0
	s_mov_b32 s19, 0x40900000
	v_fma_f64 v[8:9], v[8:9], v[12:13], 1.0
	v_cvt_i32_f64_e32 v4, v[4:5]
	v_cmp_ngt_f64_e64 vcc, |v[2:3]|, s[18:19]
	s_mov_b32 s18, 0
	v_ldexp_f64 v[4:5], v[8:9], v4
	v_mov_b32_e32 v8, 0x7ff00000
	s_brev_b32 s19, 8
	v_cndmask_b32_e32 v5, v8, v5, vcc
	v_cndmask_b32_e32 v4, 0, v4, vcc
	v_cmp_lt_f64_e64 vcc, |v[2:3]|, s[18:19]
	v_cndmask_b32_e64 v8, 0, 1, vcc
	v_lshlrev_b32_e32 v8, 8, v8
	v_ldexp_f64 v[2:3], |v[2:3]|, v8
	v_rsq_f64_e32 v[8:9], v[2:3]
	v_add_f64 v[0:1], v[0:1], -v[6:7]
	v_mul_f64 v[0:1], v[0:1], 0.5
	v_mul_f64 v[0:1], v[4:5], v[0:1]
	v_mul_f64 v[4:5], v[2:3], v[8:9]
	v_mul_f64 v[6:7], v[8:9], 0.5
	v_fma_f64 v[8:9], -v[6:7], v[4:5], 0.5
	v_fmac_f64_e32 v[4:5], v[4:5], v[8:9]
	v_fma_f64 v[12:13], -v[4:5], v[4:5], v[2:3]
	v_fmac_f64_e32 v[6:7], v[6:7], v[8:9]
	v_fmac_f64_e32 v[4:5], v[12:13], v[6:7]
	v_fma_f64 v[8:9], -v[4:5], v[4:5], v[2:3]
	v_fmac_f64_e32 v[4:5], v[8:9], v[6:7]
	v_mov_b32_e32 v6, 0xffffff80
	v_cndmask_b32_e32 v6, 0, v6, vcc
	v_ldexp_f64 v[4:5], v[4:5], v6
	v_mov_b32_e32 v6, 0x260
	v_cmp_class_f64_e32 vcc, v[2:3], v6
	v_cndmask_b32_e32 v3, v5, v3, vcc
	v_cndmask_b32_e32 v2, v4, v2, vcc
	v_div_scale_f64 v[4:5], s[18:19], v[2:3], v[2:3], v[0:1]
	v_rcp_f64_e32 v[6:7], v[4:5]
	v_fma_f64 v[8:9], -v[4:5], v[6:7], 1.0
	v_fmac_f64_e32 v[6:7], v[6:7], v[8:9]
	v_fma_f64 v[8:9], -v[4:5], v[6:7], 1.0
	v_fmac_f64_e32 v[6:7], v[6:7], v[8:9]
	v_div_scale_f64 v[8:9], vcc, v[0:1], v[2:3], v[0:1]
	v_mul_f64 v[12:13], v[8:9], v[6:7]
	v_fma_f64 v[4:5], -v[4:5], v[12:13], v[8:9]
	s_nop 1
	v_div_fmas_f64 v[4:5], v[4:5], v[6:7], v[12:13]
	v_div_fixup_f64 v[0:1], v[4:5], v[2:3], v[0:1]
.LBB8_923:
	s_or_b64 exec, exec, s[0:1]
	v_mul_lo_u32 v2, v10, s2
	v_ashrrev_i32_e32 v3, 31, v2
	v_mov_b32_e32 v5, s9
	v_add_co_u32_e32 v4, vcc, s8, v2
	v_addc_co_u32_e32 v5, vcc, v5, v3, vcc
	v_and_b32_e32 v6, 0xff, v14
	v_cmp_gt_i16_e32 vcc, 11, v6
	s_cbranch_vccnz .LBB8_1000
; %bb.924:
	v_cmp_lt_i16_e32 vcc, 25, v6
	s_mov_b64 s[20:21], -1
	s_mov_b64 s[0:1], s[6:7]
	s_cbranch_vccz .LBB8_957
; %bb.925:
	v_cmp_lt_i16_e32 vcc, 28, v6
	s_mov_b64 s[18:19], -1
	s_mov_b64 s[0:1], s[6:7]
	s_cbranch_vccz .LBB8_941
; %bb.926:
	v_cmp_lt_i16_e32 vcc, 43, v6
	s_mov_b64 s[0:1], s[6:7]
	s_cbranch_vccz .LBB8_937
; %bb.927:
	v_cmp_lt_i16_e32 vcc, 45, v6
	s_mov_b64 s[0:1], s[6:7]
	s_cbranch_vccz .LBB8_931
; %bb.928:
	v_cmp_eq_u16_e32 vcc, 46, v6
	s_mov_b64 s[0:1], -1
	s_cbranch_vccz .LBB8_930
; %bb.929:
	v_cvt_f32_f64_e32 v2, v[0:1]
	v_bfe_u32 v3, v2, 16, 1
	s_movk_i32 s0, 0x7fff
	v_add3_u32 v3, v2, v3, s0
	v_lshrrev_b32_e32 v3, 16, v3
	v_mov_b32_e32 v7, 0x7fc0
	v_cmp_o_f32_e32 vcc, v2, v2
	v_cndmask_b32_e32 v2, v7, v3, vcc
	global_store_dword v[4:5], v2, off
	s_mov_b64 s[0:1], 0
.LBB8_930:
	s_mov_b64 s[18:19], 0
.LBB8_931:
	s_and_b64 vcc, exec, s[18:19]
	s_cbranch_vccz .LBB8_936
; %bb.932:
	v_cmp_eq_u16_e32 vcc, 44, v6
	s_mov_b64 s[0:1], -1
	s_cbranch_vccz .LBB8_936
; %bb.933:
	v_cvt_f32_f64_e32 v2, v[0:1]
	v_bfe_u32 v3, v2, 23, 8
	s_movk_i32 s0, 0xff
	v_cmp_ne_u32_e32 vcc, s0, v3
	v_mov_b32_e32 v7, 0xff
	s_and_saveexec_b64 s[18:19], vcc
; %bb.934:
	s_mov_b32 s0, 0x3fffff
	v_lshrrev_b32_e32 v7, 23, v2
	v_and_b32_e32 v8, 0x400000, v2
	v_and_or_b32 v2, v2, s0, v3
	v_cmp_ne_u32_e32 vcc, 0, v8
	v_cmp_ne_u32_e64 s[0:1], 0, v2
	s_and_b64 s[0:1], vcc, s[0:1]
	v_cndmask_b32_e64 v2, 0, 1, s[0:1]
	v_add_u32_e32 v7, v7, v2
; %bb.935:
	s_or_b64 exec, exec, s[18:19]
	s_mov_b64 s[0:1], 0
	global_store_byte v[4:5], v7, off
.LBB8_936:
	s_mov_b64 s[18:19], 0
.LBB8_937:
	s_and_b64 vcc, exec, s[18:19]
	s_cbranch_vccz .LBB8_940
; %bb.938:
	v_cmp_eq_u16_e32 vcc, 29, v6
	s_mov_b64 s[0:1], -1
	s_cbranch_vccz .LBB8_940
; %bb.939:
	v_trunc_f64_e32 v[2:3], v[0:1]
	s_movk_i32 s0, 0xffe0
	v_ldexp_f64 v[8:9], v[2:3], s0
	v_floor_f64_e32 v[8:9], v[8:9]
	v_fmac_f64_e32 v[2:3], 0xc1f00000, v[8:9]
	v_cvt_u32_f64_e32 v11, v[8:9]
	v_cvt_u32_f64_e32 v10, v[2:3]
	global_store_dwordx2 v[4:5], v[10:11], off
	s_mov_b64 s[0:1], 0
.LBB8_940:
	s_mov_b64 s[18:19], 0
.LBB8_941:
	s_and_b64 vcc, exec, s[18:19]
	s_cbranch_vccz .LBB8_956
; %bb.942:
	v_cmp_gt_i16_e32 vcc, 27, v6
	s_mov_b64 s[18:19], -1
	s_cbranch_vccnz .LBB8_948
; %bb.943:
	v_cmp_lt_i16_e32 vcc, 27, v6
	v_cvt_u32_f64_e32 v2, v[0:1]
	s_cbranch_vccz .LBB8_945
; %bb.944:
	s_mov_b64 s[18:19], 0
	global_store_dword v[4:5], v2, off
.LBB8_945:
	s_andn2_b64 vcc, exec, s[18:19]
	s_cbranch_vccnz .LBB8_947
; %bb.946:
	global_store_short v[4:5], v2, off
.LBB8_947:
	s_mov_b64 s[18:19], 0
.LBB8_948:
	s_andn2_b64 vcc, exec, s[18:19]
	s_cbranch_vccnz .LBB8_956
; %bb.949:
	v_cvt_f32_f64_e32 v2, v[0:1]
	v_and_b32_e32 v3, 0x7fffffff, v2
	s_mov_b32 s18, 0x43800000
	v_cmp_gt_u32_e32 vcc, s18, v3
	v_mov_b32_e32 v7, 0x80
	s_and_saveexec_b64 s[18:19], vcc
	s_cbranch_execz .LBB8_955
; %bb.950:
	s_mov_b32 s20, 0x3bffffff
	v_cmp_lt_u32_e32 vcc, s20, v3
	s_mov_b64 s[20:21], 0
                                        ; implicit-def: $vgpr3
	s_and_saveexec_b64 s[22:23], vcc
	s_xor_b64 s[22:23], exec, s[22:23]
	s_cbranch_execz .LBB8_1057
; %bb.951:
	v_bfe_u32 v3, v2, 20, 1
	s_mov_b32 s24, 0x487ffff
	v_add3_u32 v3, v2, v3, s24
	s_mov_b64 s[20:21], exec
	v_lshrrev_b32_e32 v3, 20, v3
	s_or_saveexec_b64 s[22:23], s[22:23]
                                        ; implicit-def: $sgpr24
	s_xor_b64 exec, exec, s[22:23]
	s_cbranch_execnz .LBB8_1058
.LBB8_952:
	s_or_b64 exec, exec, s[22:23]
	v_mov_b32_e32 v7, s24
	s_and_saveexec_b64 s[22:23], s[20:21]
.LBB8_953:
	v_lshrrev_b32_e32 v2, 24, v2
	s_movk_i32 s20, 0x80
	v_and_or_b32 v7, v2, s20, v3
.LBB8_954:
	s_or_b64 exec, exec, s[22:23]
.LBB8_955:
	s_or_b64 exec, exec, s[18:19]
	global_store_byte v[4:5], v7, off
.LBB8_956:
	s_mov_b64 s[20:21], 0
.LBB8_957:
	s_mov_b64 s[18:19], 0
	s_and_b64 vcc, exec, s[20:21]
	s_cbranch_vccz .LBB8_1001
; %bb.958:
	v_cmp_lt_i16_e32 vcc, 22, v6
	s_mov_b64 s[20:21], -1
	s_cbranch_vccz .LBB8_990
; %bb.959:
	v_cmp_gt_i16_e32 vcc, 24, v6
	s_cbranch_vccnz .LBB8_979
; %bb.960:
	v_cmp_lt_i16_e32 vcc, 24, v6
	s_cbranch_vccz .LBB8_968
; %bb.961:
	v_cvt_f32_f64_e32 v2, v[0:1]
	v_and_b32_e32 v3, 0x7fffffff, v2
	s_mov_b32 s20, 0x47800000
	v_cmp_gt_u32_e32 vcc, s20, v3
	v_mov_b32_e32 v7, 0x80
	s_and_saveexec_b64 s[20:21], vcc
	s_cbranch_execz .LBB8_967
; %bb.962:
	s_mov_b32 s22, 0x37ffffff
	v_cmp_lt_u32_e32 vcc, s22, v3
	s_mov_b64 s[22:23], 0
                                        ; implicit-def: $vgpr3
	s_and_saveexec_b64 s[24:25], vcc
	s_xor_b64 s[24:25], exec, s[24:25]
	s_cbranch_execz .LBB8_1186
; %bb.963:
	v_bfe_u32 v3, v2, 21, 1
	s_mov_b32 s26, 0x88fffff
	v_add3_u32 v3, v2, v3, s26
	s_mov_b64 s[22:23], exec
	v_lshrrev_b32_e32 v3, 21, v3
	s_or_saveexec_b64 s[24:25], s[24:25]
                                        ; implicit-def: $sgpr26
	s_xor_b64 exec, exec, s[24:25]
	s_cbranch_execnz .LBB8_1187
.LBB8_964:
	s_or_b64 exec, exec, s[24:25]
	v_mov_b32_e32 v7, s26
	s_and_saveexec_b64 s[24:25], s[22:23]
.LBB8_965:
	v_lshrrev_b32_e32 v2, 24, v2
	s_movk_i32 s22, 0x80
	v_and_or_b32 v7, v2, s22, v3
.LBB8_966:
	s_or_b64 exec, exec, s[24:25]
.LBB8_967:
	s_or_b64 exec, exec, s[20:21]
	s_mov_b64 s[20:21], 0
	global_store_byte v[4:5], v7, off
.LBB8_968:
	s_and_b64 vcc, exec, s[20:21]
	s_cbranch_vccz .LBB8_978
; %bb.969:
	v_cvt_f32_f64_e32 v2, v[0:1]
	v_and_b32_e32 v7, 0x7fffffff, v2
	s_mov_b32 s20, 0x43f00000
	v_cmp_gt_u32_e32 vcc, s20, v7
                                        ; implicit-def: $vgpr3
	s_and_saveexec_b64 s[20:21], vcc
	s_xor_b64 s[20:21], exec, s[20:21]
	s_cbranch_execz .LBB8_975
; %bb.970:
	s_mov_b32 s22, 0x3c7fffff
	v_cmp_lt_u32_e32 vcc, s22, v7
                                        ; implicit-def: $vgpr3
	s_and_saveexec_b64 s[22:23], vcc
	s_xor_b64 s[22:23], exec, s[22:23]
; %bb.971:
	v_bfe_u32 v3, v2, 20, 1
	s_mov_b32 s24, 0x407ffff
	v_add3_u32 v3, v2, v3, s24
	v_lshrrev_b32_e32 v7, 20, v3
	v_and_b32_e32 v3, 0xff00000, v3
	s_mov_b32 s24, 0x7f00000
	v_mov_b32_e32 v8, 0x7e
	v_cmp_ne_u32_e32 vcc, s24, v3
	v_cndmask_b32_e32 v3, v8, v7, vcc
; %bb.972:
	s_andn2_saveexec_b64 s[22:23], s[22:23]
; %bb.973:
	s_mov_b32 s24, 0x46800000
	v_add_f32_e64 v3, |v2|, s24
; %bb.974:
	s_or_b64 exec, exec, s[22:23]
                                        ; implicit-def: $vgpr7
.LBB8_975:
	s_andn2_saveexec_b64 s[20:21], s[20:21]
; %bb.976:
	s_mov_b32 s22, 0x7f800000
	v_mov_b32_e32 v3, 0x7e
	v_mov_b32_e32 v8, 0x7f
	v_cmp_lt_u32_e32 vcc, s22, v7
	v_cndmask_b32_e32 v3, v3, v8, vcc
; %bb.977:
	s_or_b64 exec, exec, s[20:21]
	v_lshrrev_b32_e32 v2, 24, v2
	s_movk_i32 s20, 0x80
	v_and_or_b32 v2, v2, s20, v3
	global_store_byte v[4:5], v2, off
.LBB8_978:
	s_mov_b64 s[20:21], 0
.LBB8_979:
	s_andn2_b64 vcc, exec, s[20:21]
	s_cbranch_vccnz .LBB8_989
; %bb.980:
	v_cvt_f32_f64_e32 v2, v[0:1]
	v_and_b32_e32 v7, 0x7fffffff, v2
	s_mov_b32 s20, 0x47800000
	v_cmp_gt_u32_e32 vcc, s20, v7
                                        ; implicit-def: $vgpr3
	s_and_saveexec_b64 s[20:21], vcc
	s_xor_b64 s[20:21], exec, s[20:21]
	s_cbranch_execz .LBB8_986
; %bb.981:
	s_mov_b32 s22, 0x387fffff
	v_cmp_lt_u32_e32 vcc, s22, v7
                                        ; implicit-def: $vgpr3
	s_and_saveexec_b64 s[22:23], vcc
	s_xor_b64 s[22:23], exec, s[22:23]
; %bb.982:
	v_bfe_u32 v3, v2, 21, 1
	s_mov_b32 s24, 0x80fffff
	v_add3_u32 v3, v2, v3, s24
	v_lshrrev_b32_e32 v3, 21, v3
; %bb.983:
	s_andn2_saveexec_b64 s[22:23], s[22:23]
; %bb.984:
	s_mov_b32 s24, 0x43000000
	v_add_f32_e64 v3, |v2|, s24
; %bb.985:
	s_or_b64 exec, exec, s[22:23]
                                        ; implicit-def: $vgpr7
.LBB8_986:
	s_andn2_saveexec_b64 s[20:21], s[20:21]
; %bb.987:
	s_mov_b32 s22, 0x7f800000
	v_mov_b32_e32 v3, 0x7c
	v_mov_b32_e32 v8, 0x7f
	v_cmp_lt_u32_e32 vcc, s22, v7
	v_cndmask_b32_e32 v3, v3, v8, vcc
; %bb.988:
	s_or_b64 exec, exec, s[20:21]
	v_lshrrev_b32_e32 v2, 24, v2
	s_movk_i32 s20, 0x80
	v_and_or_b32 v2, v2, s20, v3
	global_store_byte v[4:5], v2, off
.LBB8_989:
	s_mov_b64 s[20:21], 0
.LBB8_990:
	s_andn2_b64 vcc, exec, s[20:21]
	s_mov_b64 s[20:21], 0
	s_cbranch_vccnz .LBB8_1002
; %bb.991:
	v_cmp_lt_i16_e32 vcc, 14, v6
	s_mov_b64 s[22:23], -1
	s_cbranch_vccz .LBB8_995
; %bb.992:
	v_cmp_eq_u16_e32 vcc, 15, v6
	s_mov_b64 s[0:1], -1
	s_cbranch_vccz .LBB8_994
; %bb.993:
	v_cvt_f32_f64_e32 v2, v[0:1]
	v_bfe_u32 v3, v2, 16, 1
	s_movk_i32 s0, 0x7fff
	v_add3_u32 v3, v2, v3, s0
	v_lshrrev_b32_e32 v3, 16, v3
	v_mov_b32_e32 v7, 0x7fc0
	v_cmp_o_f32_e32 vcc, v2, v2
	v_cndmask_b32_e32 v2, v7, v3, vcc
	global_store_short v[4:5], v2, off
	s_mov_b64 s[0:1], 0
.LBB8_994:
	s_mov_b64 s[22:23], 0
.LBB8_995:
	s_and_b64 vcc, exec, s[22:23]
	s_cbranch_vccz .LBB8_1002
; %bb.996:
	v_cmp_ne_u16_e32 vcc, 11, v6
	s_andn2_b64 s[0:1], s[0:1], exec
	s_and_b64 s[22:23], vcc, exec
	s_mov_b64 s[20:21], -1
	s_or_b64 s[0:1], s[0:1], s[22:23]
	s_branch .LBB8_1002
.LBB8_997:
	s_or_b64 exec, exec, s[14:15]
	s_and_saveexec_b64 s[0:1], s[6:7]
	s_cbranch_execnz .LBB8_1003
.LBB8_998:
	s_or_b64 exec, exec, s[0:1]
	s_and_saveexec_b64 s[0:1], s[20:21]
	s_xor_b64 s[0:1], exec, s[0:1]
	s_cbranch_execz .LBB8_1004
.LBB8_999:
	v_cmp_neq_f64_e32 vcc, 0, v[0:1]
	s_waitcnt vmcnt(0)
	v_cndmask_b32_e64 v2, 0, 1, vcc
	global_store_byte v[4:5], v2, off
	s_or_b64 exec, exec, s[0:1]
	s_and_saveexec_b64 s[0:1], s[18:19]
	s_xor_b64 s[0:1], exec, s[0:1]
	s_cbranch_execz .LBB8_1042
	s_branch .LBB8_1005
.LBB8_1000:
	s_mov_b64 s[20:21], 0
	s_mov_b64 s[18:19], -1
	s_mov_b64 s[0:1], s[6:7]
	s_branch .LBB8_1002
.LBB8_1001:
	s_mov_b64 s[20:21], 0
.LBB8_1002:
	s_andn2_b64 s[6:7], s[6:7], exec
	s_and_b64 s[0:1], s[0:1], exec
	s_and_b64 s[18:19], s[18:19], exec
	;; [unrolled: 1-line block ×3, first 2 shown]
	s_or_b64 s[6:7], s[6:7], s[0:1]
	s_or_b64 exec, exec, s[14:15]
	s_and_saveexec_b64 s[0:1], s[6:7]
	s_cbranch_execz .LBB8_998
.LBB8_1003:
	s_or_b64 s[16:17], s[16:17], exec
	s_andn2_b64 s[20:21], s[20:21], exec
	s_trap 2
	s_or_b64 exec, exec, s[0:1]
	s_and_saveexec_b64 s[0:1], s[20:21]
	s_xor_b64 s[0:1], exec, s[0:1]
	s_cbranch_execnz .LBB8_999
.LBB8_1004:
	s_or_b64 exec, exec, s[0:1]
	s_and_saveexec_b64 s[0:1], s[18:19]
	s_xor_b64 s[0:1], exec, s[0:1]
	s_cbranch_execz .LBB8_1042
.LBB8_1005:
	v_cmp_gt_i16_e32 vcc, 5, v6
	s_mov_b64 s[6:7], -1
	s_cbranch_vccnz .LBB8_1026
; %bb.1006:
	v_cmp_gt_i16_e32 vcc, 8, v6
	s_cbranch_vccnz .LBB8_1016
; %bb.1007:
	v_cmp_gt_i16_e32 vcc, 9, v6
	s_cbranch_vccnz .LBB8_1013
; %bb.1008:
	v_cmp_lt_i16_e32 vcc, 9, v6
	s_cbranch_vccz .LBB8_1010
; %bb.1009:
	s_waitcnt vmcnt(0)
	v_mov_b32_e32 v2, 0
	v_mov_b32_e32 v3, v2
	s_mov_b64 s[6:7], 0
	global_store_dwordx4 v[4:5], v[0:3], off
.LBB8_1010:
	s_andn2_b64 vcc, exec, s[6:7]
	s_cbranch_vccnz .LBB8_1012
; %bb.1011:
	s_waitcnt vmcnt(0)
	v_cvt_f32_f64_e32 v2, v[0:1]
	v_mov_b32_e32 v3, 0
	global_store_dwordx2 v[4:5], v[2:3], off
.LBB8_1012:
	s_mov_b64 s[6:7], 0
.LBB8_1013:
	s_andn2_b64 vcc, exec, s[6:7]
	s_cbranch_vccnz .LBB8_1015
; %bb.1014:
	s_waitcnt vmcnt(0)
	v_cvt_f32_f64_e32 v2, v[0:1]
	v_cvt_f16_f32_e32 v2, v2
	global_store_dword v[4:5], v2, off
.LBB8_1015:
	s_mov_b64 s[6:7], 0
.LBB8_1016:
	s_andn2_b64 vcc, exec, s[6:7]
	s_cbranch_vccnz .LBB8_1025
; %bb.1017:
	v_cmp_gt_i16_e32 vcc, 6, v6
	s_mov_b64 s[6:7], -1
	s_cbranch_vccnz .LBB8_1023
; %bb.1018:
	v_cmp_lt_i16_e32 vcc, 6, v6
	s_cbranch_vccz .LBB8_1020
; %bb.1019:
	s_mov_b64 s[6:7], 0
	global_store_dwordx2 v[4:5], v[0:1], off
.LBB8_1020:
	s_andn2_b64 vcc, exec, s[6:7]
	s_cbranch_vccnz .LBB8_1022
; %bb.1021:
	s_waitcnt vmcnt(0)
	v_cvt_f32_f64_e32 v2, v[0:1]
	global_store_dword v[4:5], v2, off
.LBB8_1022:
	s_mov_b64 s[6:7], 0
.LBB8_1023:
	s_andn2_b64 vcc, exec, s[6:7]
	s_cbranch_vccnz .LBB8_1025
; %bb.1024:
	s_waitcnt vmcnt(0)
	v_cvt_f32_f64_e32 v2, v[0:1]
	v_cvt_f16_f32_e32 v2, v2
	global_store_short v[4:5], v2, off
.LBB8_1025:
	s_mov_b64 s[6:7], 0
.LBB8_1026:
	s_andn2_b64 vcc, exec, s[6:7]
	s_cbranch_vccnz .LBB8_1042
; %bb.1027:
	v_cmp_gt_i16_e32 vcc, 2, v6
	s_mov_b64 s[6:7], -1
	s_cbranch_vccnz .LBB8_1037
; %bb.1028:
	v_cmp_gt_i16_e32 vcc, 3, v6
	s_cbranch_vccnz .LBB8_1034
; %bb.1029:
	v_cmp_lt_i16_e32 vcc, 3, v6
	s_cbranch_vccz .LBB8_1031
; %bb.1030:
	s_waitcnt vmcnt(0)
	v_trunc_f64_e32 v[2:3], v[0:1]
	s_movk_i32 s6, 0xffe0
	v_ldexp_f64 v[8:9], v[2:3], s6
	v_floor_f64_e32 v[8:9], v[8:9]
	v_fmac_f64_e32 v[2:3], 0xc1f00000, v[8:9]
	v_cvt_i32_f64_e32 v11, v[8:9]
	v_cvt_u32_f64_e32 v10, v[2:3]
	s_mov_b64 s[6:7], 0
	global_store_dwordx2 v[4:5], v[10:11], off
.LBB8_1031:
	s_andn2_b64 vcc, exec, s[6:7]
	s_cbranch_vccnz .LBB8_1033
; %bb.1032:
	s_waitcnt vmcnt(0)
	v_cvt_i32_f64_e32 v2, v[0:1]
	global_store_dword v[4:5], v2, off
.LBB8_1033:
	s_mov_b64 s[6:7], 0
.LBB8_1034:
	s_andn2_b64 vcc, exec, s[6:7]
	s_cbranch_vccnz .LBB8_1036
; %bb.1035:
	s_waitcnt vmcnt(0)
	v_cvt_i32_f64_e32 v2, v[0:1]
	global_store_short v[4:5], v2, off
.LBB8_1036:
	s_mov_b64 s[6:7], 0
.LBB8_1037:
	s_andn2_b64 vcc, exec, s[6:7]
	s_cbranch_vccnz .LBB8_1042
; %bb.1038:
	v_cmp_lt_i16_e32 vcc, 0, v6
	s_mov_b64 s[6:7], -1
	s_cbranch_vccz .LBB8_1040
; %bb.1039:
	s_waitcnt vmcnt(0)
	v_cvt_i32_f64_e32 v2, v[0:1]
	s_mov_b64 s[6:7], 0
	global_store_byte v[4:5], v2, off
.LBB8_1040:
	s_andn2_b64 vcc, exec, s[6:7]
	s_cbranch_vccnz .LBB8_1042
; %bb.1041:
	v_trunc_f64_e32 v[0:1], v[0:1]
	s_movk_i32 s6, 0xffe0
	s_waitcnt vmcnt(0)
	v_ldexp_f64 v[2:3], v[0:1], s6
	v_floor_f64_e32 v[2:3], v[2:3]
	v_fmac_f64_e32 v[0:1], 0xc1f00000, v[2:3]
	v_cvt_u32_f64_e32 v0, v[0:1]
	global_store_byte v[4:5], v0, off
.LBB8_1042:
	s_or_b64 exec, exec, s[0:1]
	s_and_b64 s[6:7], s[16:17], exec
                                        ; implicit-def: $vgpr10
                                        ; implicit-def: $vgpr11
                                        ; implicit-def: $vgpr14
.LBB8_1043:
	s_or_saveexec_b64 s[4:5], s[4:5]
	s_mov_b64 s[0:1], 0
                                        ; implicit-def: $vgpr2
                                        ; implicit-def: $vgpr0_vgpr1
                                        ; implicit-def: $vgpr12_vgpr13
	s_xor_b64 exec, exec, s[4:5]
	s_cbranch_execz .LBB8_1582
; %bb.1044:
	v_mul_lo_u32 v4, s3, v10
	v_ashrrev_i32_e32 v1, 31, v4
	s_waitcnt vmcnt(0)
	v_mov_b32_e32 v2, s11
	v_add_co_u32_e32 v0, vcc, s10, v4
	v_addc_co_u32_e32 v1, vcc, v2, v1, vcc
	v_cmp_gt_i16_e64 s[0:1], 11, v11
	s_and_b64 vcc, exec, s[0:1]
	s_cbranch_vccnz .LBB8_1051
; %bb.1045:
	v_cmp_lt_i16_e32 vcc, 25, v11
	s_mov_b64 s[16:17], 0
	s_cbranch_vccz .LBB8_1053
; %bb.1046:
	v_cmp_lt_i16_e32 vcc, 28, v11
	s_cbranch_vccz .LBB8_1054
; %bb.1047:
	v_cmp_lt_i16_e32 vcc, 43, v11
	;; [unrolled: 3-line block ×3, first 2 shown]
	s_cbranch_vccz .LBB8_1056
; %bb.1049:
	v_cmp_eq_u16_e32 vcc, 46, v11
	s_mov_b64 s[14:15], 0
	s_cbranch_vccz .LBB8_1059
; %bb.1050:
	global_load_dword v2, v[0:1], off
	s_mov_b64 s[18:19], -1
	s_waitcnt vmcnt(0)
	v_lshlrev_b32_e32 v2, 16, v2
	v_cvt_f64_f32_e32 v[2:3], v2
	s_branch .LBB8_1060
.LBB8_1051:
	s_mov_b64 s[18:19], 0
                                        ; implicit-def: $vgpr2_vgpr3
	s_mov_b64 s[14:15], s[6:7]
	s_cbranch_execnz .LBB8_1123
.LBB8_1052:
	s_andn2_b64 vcc, exec, s[18:19]
	s_cbranch_vccz .LBB8_1168
	s_branch .LBB8_1579
.LBB8_1053:
	s_mov_b64 s[18:19], 0
                                        ; implicit-def: $vgpr2_vgpr3
	s_cbranch_execnz .LBB8_1088
	s_branch .LBB8_1119
.LBB8_1054:
	s_mov_b64 s[14:15], -1
	s_mov_b64 s[18:19], 0
                                        ; implicit-def: $vgpr2_vgpr3
	s_branch .LBB8_1069
.LBB8_1055:
	s_mov_b64 s[18:19], 0
                                        ; implicit-def: $vgpr2_vgpr3
	s_cbranch_execnz .LBB8_1065
	s_branch .LBB8_1068
.LBB8_1056:
	s_mov_b64 s[14:15], -1
	s_mov_b64 s[18:19], 0
                                        ; implicit-def: $vgpr2_vgpr3
	s_branch .LBB8_1060
.LBB8_1057:
	s_or_saveexec_b64 s[22:23], s[22:23]
                                        ; implicit-def: $sgpr24
	s_xor_b64 exec, exec, s[22:23]
	s_cbranch_execz .LBB8_952
.LBB8_1058:
	s_mov_b32 s24, 0x46000000
	v_add_f32_e64 v3, |v2|, s24
	v_and_b32_e32 v3, 0xff, v3
	v_cmp_ne_u32_e32 vcc, 0, v3
	s_andn2_b64 s[20:21], s[20:21], exec
	s_and_b64 s[26:27], vcc, exec
	s_mov_b32 s24, 0
	s_or_b64 s[20:21], s[20:21], s[26:27]
	s_or_b64 exec, exec, s[22:23]
	v_mov_b32_e32 v7, s24
	s_and_saveexec_b64 s[22:23], s[20:21]
	s_cbranch_execnz .LBB8_953
	s_branch .LBB8_954
.LBB8_1059:
	s_mov_b64 s[12:13], -1
                                        ; implicit-def: $vgpr2_vgpr3
	s_mov_b64 s[18:19], 0
.LBB8_1060:
	s_and_b64 vcc, exec, s[14:15]
	s_cbranch_vccz .LBB8_1063
; %bb.1061:
	v_cmp_eq_u16_e32 vcc, 44, v11
	s_cbranch_vccz .LBB8_1064
; %bb.1062:
	global_load_ubyte v5, v[0:1], off
	s_movk_i32 s14, 0xff
	v_bfrev_b32_e32 v6, 4
	v_mov_b32_e32 v7, 0x7ff80000
	v_bfrev_b32_e32 v8, 28
	s_mov_b64 s[12:13], 0
	s_mov_b64 s[18:19], -1
	s_waitcnt vmcnt(0)
	v_lshlrev_b32_e32 v2, 23, v5
	v_cvt_f64_f32_e32 v[2:3], v2
	v_cmp_ne_u32_e32 vcc, s14, v5
	v_cndmask_b32_e32 v2, v6, v2, vcc
	v_cndmask_b32_e32 v3, v7, v3, vcc
	v_cmp_ne_u32_e32 vcc, 0, v5
	v_cndmask_b32_e32 v3, v8, v3, vcc
	v_cndmask_b32_e32 v2, 0, v2, vcc
.LBB8_1063:
	s_branch .LBB8_1068
.LBB8_1064:
	s_mov_b64 s[12:13], -1
                                        ; implicit-def: $vgpr2_vgpr3
	s_branch .LBB8_1068
.LBB8_1065:
	v_cmp_eq_u16_e32 vcc, 29, v11
	s_cbranch_vccz .LBB8_1067
; %bb.1066:
	global_load_dwordx2 v[2:3], v[0:1], off
	s_mov_b64 s[12:13], 0
	s_mov_b64 s[18:19], -1
	s_mov_b64 s[14:15], 0
	s_waitcnt vmcnt(0)
	v_cvt_f64_u32_e32 v[6:7], v3
	v_cvt_f64_u32_e32 v[2:3], v2
	v_ldexp_f64 v[6:7], v[6:7], 32
	v_add_f64 v[2:3], v[6:7], v[2:3]
	s_branch .LBB8_1069
.LBB8_1067:
	s_mov_b64 s[12:13], -1
                                        ; implicit-def: $vgpr2_vgpr3
.LBB8_1068:
	s_mov_b64 s[14:15], 0
.LBB8_1069:
	s_and_b64 vcc, exec, s[14:15]
	s_cbranch_vccz .LBB8_1087
; %bb.1070:
	v_cmp_gt_i16_e32 vcc, 27, v11
	s_cbranch_vccnz .LBB8_1073
; %bb.1071:
	v_cmp_lt_i16_e32 vcc, 27, v11
	s_cbranch_vccz .LBB8_1074
; %bb.1072:
	global_load_dword v2, v[0:1], off
	s_mov_b64 s[14:15], 0
	s_waitcnt vmcnt(0)
	v_cvt_f64_u32_e32 v[2:3], v2
	s_branch .LBB8_1075
.LBB8_1073:
	s_mov_b64 s[14:15], -1
                                        ; implicit-def: $vgpr2_vgpr3
	s_branch .LBB8_1078
.LBB8_1074:
	s_mov_b64 s[14:15], -1
                                        ; implicit-def: $vgpr2_vgpr3
.LBB8_1075:
	s_andn2_b64 vcc, exec, s[14:15]
	s_cbranch_vccnz .LBB8_1077
; %bb.1076:
	global_load_ushort v2, v[0:1], off
	s_waitcnt vmcnt(0)
	v_cvt_f64_u32_e32 v[2:3], v2
.LBB8_1077:
	s_mov_b64 s[14:15], 0
.LBB8_1078:
	s_andn2_b64 vcc, exec, s[14:15]
	s_cbranch_vccnz .LBB8_1086
; %bb.1079:
	global_load_ubyte v5, v[0:1], off
	s_movk_i32 s14, 0x7f
                                        ; implicit-def: $sgpr18_sgpr19
	s_waitcnt vmcnt(0)
	v_cmp_lt_i16_e32 vcc, s14, v5
	s_mov_b64 s[14:15], 0
	s_and_saveexec_b64 s[20:21], vcc
	s_xor_b64 s[20:21], exec, s[20:21]
	s_cbranch_execz .LBB8_1099
; %bb.1080:
	s_movk_i32 s14, 0x80
	v_cmp_eq_u16_e32 vcc, s14, v5
	s_mov_b64 s[22:23], -1
                                        ; implicit-def: $sgpr18_sgpr19
	s_and_saveexec_b64 s[14:15], vcc
; %bb.1081:
	s_mov_b32 s19, 0x7ff80000
	s_brev_b32 s18, 4
	s_xor_b64 s[22:23], exec, -1
; %bb.1082:
	s_or_b64 exec, exec, s[14:15]
	s_and_b64 s[14:15], s[22:23], exec
	s_or_saveexec_b64 s[20:21], s[20:21]
	v_pk_mov_b32 v[2:3], s[18:19], s[18:19] op_sel:[0,1]
	s_xor_b64 exec, exec, s[20:21]
	s_cbranch_execnz .LBB8_1100
.LBB8_1083:
	s_or_b64 exec, exec, s[20:21]
	s_and_saveexec_b64 s[18:19], s[14:15]
	s_cbranch_execz .LBB8_1085
.LBB8_1084:
	v_and_b32_e32 v3, 0xffff, v5
	v_lshlrev_b32_e32 v2, 24, v5
	v_and_b32_e32 v5, 7, v3
	v_ffbh_u32_e32 v7, v5
	v_min_u32_e32 v7, 32, v7
	v_subrev_u32_e32 v8, 28, v7
	v_bfe_u32 v6, v3, 3, 4
	v_lshlrev_b32_e32 v3, v8, v3
	v_sub_u32_e32 v7, 29, v7
	v_and_b32_e32 v3, 7, v3
	v_cmp_eq_u32_e32 vcc, 0, v6
	v_cndmask_b32_e32 v6, v6, v7, vcc
	v_cndmask_b32_e32 v3, v5, v3, vcc
	v_mov_b32_e32 v5, 0x3b800000
	v_lshlrev_b32_e32 v3, 20, v3
	v_and_b32_e32 v2, 0x80000000, v2
	v_lshl_add_u32 v5, v6, 23, v5
	v_or3_b32 v2, v2, v5, v3
	v_cvt_f64_f32_e32 v[2:3], v2
.LBB8_1085:
	s_or_b64 exec, exec, s[18:19]
.LBB8_1086:
	s_mov_b64 s[18:19], -1
.LBB8_1087:
	s_branch .LBB8_1119
.LBB8_1088:
	v_cmp_lt_i16_e32 vcc, 22, v11
	s_cbranch_vccz .LBB8_1098
; %bb.1089:
	v_cmp_gt_i16_e32 vcc, 24, v11
	s_cbranch_vccnz .LBB8_1101
; %bb.1090:
	v_cmp_lt_i16_e32 vcc, 24, v11
	s_cbranch_vccz .LBB8_1102
; %bb.1091:
	global_load_ubyte v5, v[0:1], off
	s_movk_i32 s14, 0x7f
                                        ; implicit-def: $sgpr16_sgpr17
	s_waitcnt vmcnt(0)
	v_cmp_lt_i16_e32 vcc, s14, v5
	s_mov_b64 s[14:15], 0
	s_and_saveexec_b64 s[18:19], vcc
	s_xor_b64 s[18:19], exec, s[18:19]
	s_cbranch_execz .LBB8_1113
; %bb.1092:
	s_movk_i32 s14, 0x80
	v_cmp_eq_u16_e32 vcc, s14, v5
	s_mov_b64 s[20:21], -1
                                        ; implicit-def: $sgpr16_sgpr17
	s_and_saveexec_b64 s[14:15], vcc
; %bb.1093:
	s_mov_b32 s17, 0x7ff80000
	s_brev_b32 s16, 4
	s_xor_b64 s[20:21], exec, -1
; %bb.1094:
	s_or_b64 exec, exec, s[14:15]
	s_and_b64 s[14:15], s[20:21], exec
	s_or_saveexec_b64 s[18:19], s[18:19]
	v_pk_mov_b32 v[2:3], s[16:17], s[16:17] op_sel:[0,1]
	s_xor_b64 exec, exec, s[18:19]
	s_cbranch_execnz .LBB8_1114
.LBB8_1095:
	s_or_b64 exec, exec, s[18:19]
	s_and_saveexec_b64 s[16:17], s[14:15]
	s_cbranch_execz .LBB8_1097
.LBB8_1096:
	v_and_b32_e32 v3, 0xffff, v5
	v_lshlrev_b32_e32 v2, 24, v5
	v_and_b32_e32 v5, 3, v3
	v_ffbh_u32_e32 v7, v5
	v_min_u32_e32 v7, 32, v7
	v_subrev_u32_e32 v8, 29, v7
	v_bfe_u32 v6, v3, 2, 5
	v_lshlrev_b32_e32 v3, v8, v3
	v_sub_u32_e32 v7, 30, v7
	v_and_b32_e32 v3, 3, v3
	v_cmp_eq_u32_e32 vcc, 0, v6
	v_cndmask_b32_e32 v6, v6, v7, vcc
	v_cndmask_b32_e32 v3, v5, v3, vcc
	v_mov_b32_e32 v5, 0x37800000
	v_lshlrev_b32_e32 v3, 21, v3
	v_and_b32_e32 v2, 0x80000000, v2
	v_lshl_add_u32 v5, v6, 23, v5
	v_or3_b32 v2, v2, v5, v3
	v_cvt_f64_f32_e32 v[2:3], v2
.LBB8_1097:
	s_or_b64 exec, exec, s[16:17]
	s_mov_b64 s[14:15], 0
	s_branch .LBB8_1103
.LBB8_1098:
                                        ; implicit-def: $vgpr2_vgpr3
	s_mov_b64 s[16:17], 0
	s_branch .LBB8_1109
.LBB8_1099:
	s_or_saveexec_b64 s[20:21], s[20:21]
	v_pk_mov_b32 v[2:3], s[18:19], s[18:19] op_sel:[0,1]
	s_xor_b64 exec, exec, s[20:21]
	s_cbranch_execz .LBB8_1083
.LBB8_1100:
	v_cmp_ne_u16_e32 vcc, 0, v5
	s_andn2_b64 s[14:15], s[14:15], exec
	s_and_b64 s[18:19], vcc, exec
	v_pk_mov_b32 v[2:3], 0, 0
	s_or_b64 s[14:15], s[14:15], s[18:19]
	s_or_b64 exec, exec, s[20:21]
	s_and_saveexec_b64 s[18:19], s[14:15]
	s_cbranch_execnz .LBB8_1084
	s_branch .LBB8_1085
.LBB8_1101:
	s_mov_b64 s[14:15], -1
                                        ; implicit-def: $vgpr2_vgpr3
	s_branch .LBB8_1106
.LBB8_1102:
	s_mov_b64 s[14:15], -1
                                        ; implicit-def: $vgpr2_vgpr3
.LBB8_1103:
	s_and_b64 vcc, exec, s[14:15]
	s_cbranch_vccz .LBB8_1105
; %bb.1104:
	global_load_ubyte v2, v[0:1], off
	s_mov_b32 s14, 0x7f800000
	s_waitcnt vmcnt(0)
	v_lshlrev_b32_e32 v2, 24, v2
	v_and_b32_e32 v3, 0x7f000000, v2
	v_ffbh_u32_e32 v5, v3
	v_min_u32_e32 v5, 32, v5
	v_sub_u32_e64 v5, v5, 4 clamp
	v_lshlrev_b32_e32 v7, v5, v3
	v_lshlrev_b32_e32 v5, 23, v5
	v_lshrrev_b32_e32 v7, 4, v7
	v_add_u32_e32 v6, 0x1000000, v3
	v_sub_u32_e32 v5, v7, v5
	v_ashrrev_i32_e32 v6, 8, v6
	v_add_u32_e32 v5, 0x3c000000, v5
	v_and_or_b32 v5, v6, s14, v5
	v_cmp_ne_u32_e32 vcc, 0, v3
	v_cndmask_b32_e32 v3, 0, v5, vcc
	s_brev_b32 s14, 1
	v_and_or_b32 v2, v2, s14, v3
	v_cvt_f64_f32_e32 v[2:3], v2
.LBB8_1105:
	s_mov_b64 s[14:15], 0
.LBB8_1106:
	s_andn2_b64 vcc, exec, s[14:15]
	s_cbranch_vccnz .LBB8_1108
; %bb.1107:
	global_load_ubyte v2, v[0:1], off
	s_movk_i32 s14, 0x7f00
	s_brev_b32 s15, 16
	s_waitcnt vmcnt(0)
	v_lshlrev_b16_e32 v3, 8, v2
	v_lshlrev_b32_e32 v2, 25, v2
	v_lshrrev_b32_e32 v5, 4, v2
	v_and_or_b32 v6, v3, s14, 0.5
	v_or_b32_e32 v5, 0x70000000, v5
	v_add_f32_e32 v6, -0.5, v6
	v_mul_f32_e32 v5, 0x7800000, v5
	v_cmp_gt_u32_e32 vcc, s15, v2
	v_bfe_i32 v3, v3, 0, 16
	v_cndmask_b32_e32 v2, v5, v6, vcc
	s_brev_b32 s14, 1
	v_and_or_b32 v2, v3, s14, v2
	v_cvt_f64_f32_e32 v[2:3], v2
.LBB8_1108:
	s_mov_b64 s[18:19], -1
	s_mov_b64 s[16:17], 0
	s_cbranch_execnz .LBB8_1119
.LBB8_1109:
	v_cmp_lt_i16_e32 vcc, 14, v11
	s_cbranch_vccz .LBB8_1112
; %bb.1110:
	v_cmp_eq_u16_e32 vcc, 15, v11
	s_cbranch_vccz .LBB8_1115
; %bb.1111:
	global_load_ushort v2, v[0:1], off
	s_mov_b64 s[12:13], 0
	s_mov_b64 s[18:19], -1
	s_waitcnt vmcnt(0)
	v_lshlrev_b32_e32 v2, 16, v2
	v_cvt_f64_f32_e32 v[2:3], v2
	s_branch .LBB8_1116
.LBB8_1112:
	s_mov_b64 s[14:15], -1
                                        ; implicit-def: $vgpr2_vgpr3
	s_branch .LBB8_1117
.LBB8_1113:
	s_or_saveexec_b64 s[18:19], s[18:19]
	v_pk_mov_b32 v[2:3], s[16:17], s[16:17] op_sel:[0,1]
	s_xor_b64 exec, exec, s[18:19]
	s_cbranch_execz .LBB8_1095
.LBB8_1114:
	v_cmp_ne_u16_e32 vcc, 0, v5
	s_andn2_b64 s[14:15], s[14:15], exec
	s_and_b64 s[16:17], vcc, exec
	v_pk_mov_b32 v[2:3], 0, 0
	s_or_b64 s[14:15], s[14:15], s[16:17]
	s_or_b64 exec, exec, s[18:19]
	s_and_saveexec_b64 s[16:17], s[14:15]
	s_cbranch_execnz .LBB8_1096
	s_branch .LBB8_1097
.LBB8_1115:
	s_mov_b64 s[12:13], -1
                                        ; implicit-def: $vgpr2_vgpr3
.LBB8_1116:
	s_mov_b64 s[14:15], 0
.LBB8_1117:
	s_and_b64 vcc, exec, s[14:15]
	s_cbranch_vccz .LBB8_1119
; %bb.1118:
	v_cmp_ne_u16_e64 s[12:13], 11, v11
	s_mov_b64 s[16:17], -1
                                        ; implicit-def: $vgpr2_vgpr3
.LBB8_1119:
	s_and_b64 vcc, exec, s[12:13]
	s_mov_b64 s[14:15], s[6:7]
	s_cbranch_vccnz .LBB8_1184
; %bb.1120:
	s_andn2_b64 vcc, exec, s[16:17]
	s_cbranch_vccnz .LBB8_1122
.LBB8_1121:
	global_load_ubyte v3, v[0:1], off
	v_mov_b32_e32 v5, 0x3ff00000
	v_mov_b32_e32 v2, 0
	s_mov_b64 s[18:19], -1
	s_waitcnt vmcnt(0)
	v_cmp_ne_u16_e32 vcc, 0, v3
	v_cndmask_b32_e32 v3, 0, v5, vcc
.LBB8_1122:
	s_branch .LBB8_1052
.LBB8_1123:
	v_cmp_gt_i16_e32 vcc, 5, v11
	s_cbranch_vccnz .LBB8_1128
; %bb.1124:
	v_cmp_gt_i16_e32 vcc, 8, v11
	s_cbranch_vccnz .LBB8_1129
; %bb.1125:
	;; [unrolled: 3-line block ×3, first 2 shown]
	v_cmp_lt_i16_e32 vcc, 9, v11
	s_cbranch_vccz .LBB8_1131
; %bb.1127:
	global_load_dwordx2 v[2:3], v[0:1], off
	s_mov_b64 s[12:13], 0
	s_branch .LBB8_1132
.LBB8_1128:
                                        ; implicit-def: $vgpr2_vgpr3
	s_branch .LBB8_1149
.LBB8_1129:
                                        ; implicit-def: $vgpr2_vgpr3
	s_branch .LBB8_1138
.LBB8_1130:
	s_mov_b64 s[12:13], -1
                                        ; implicit-def: $vgpr2_vgpr3
	s_branch .LBB8_1135
.LBB8_1131:
	s_mov_b64 s[12:13], -1
                                        ; implicit-def: $vgpr2_vgpr3
.LBB8_1132:
	s_andn2_b64 vcc, exec, s[12:13]
	s_cbranch_vccnz .LBB8_1134
; %bb.1133:
	global_load_dword v2, v[0:1], off
	s_waitcnt vmcnt(0)
	v_cvt_f64_f32_e32 v[2:3], v2
.LBB8_1134:
	s_mov_b64 s[12:13], 0
.LBB8_1135:
	s_andn2_b64 vcc, exec, s[12:13]
	s_cbranch_vccnz .LBB8_1137
; %bb.1136:
	global_load_dword v2, v[0:1], off
	s_waitcnt vmcnt(0)
	v_cvt_f32_f16_e32 v2, v2
	v_cvt_f64_f32_e32 v[2:3], v2
.LBB8_1137:
	s_cbranch_execnz .LBB8_1148
.LBB8_1138:
	v_cmp_gt_i16_e32 vcc, 6, v11
	s_cbranch_vccnz .LBB8_1141
; %bb.1139:
	v_cmp_lt_i16_e32 vcc, 6, v11
	s_cbranch_vccz .LBB8_1142
; %bb.1140:
	global_load_dwordx2 v[2:3], v[0:1], off
	s_mov_b64 s[12:13], 0
	s_branch .LBB8_1143
.LBB8_1141:
	s_mov_b64 s[12:13], -1
                                        ; implicit-def: $vgpr2_vgpr3
	s_branch .LBB8_1146
.LBB8_1142:
	s_mov_b64 s[12:13], -1
                                        ; implicit-def: $vgpr2_vgpr3
.LBB8_1143:
	s_andn2_b64 vcc, exec, s[12:13]
	s_cbranch_vccnz .LBB8_1145
; %bb.1144:
	global_load_dword v2, v[0:1], off
	s_waitcnt vmcnt(0)
	v_cvt_f64_f32_e32 v[2:3], v2
.LBB8_1145:
	s_mov_b64 s[12:13], 0
.LBB8_1146:
	s_andn2_b64 vcc, exec, s[12:13]
	s_cbranch_vccnz .LBB8_1148
; %bb.1147:
	global_load_ushort v2, v[0:1], off
	s_waitcnt vmcnt(0)
	v_cvt_f32_f16_e32 v2, v2
	v_cvt_f64_f32_e32 v[2:3], v2
.LBB8_1148:
	s_cbranch_execnz .LBB8_1167
.LBB8_1149:
	v_cmp_gt_i16_e32 vcc, 2, v11
	s_cbranch_vccnz .LBB8_1153
; %bb.1150:
	v_cmp_gt_i16_e32 vcc, 3, v11
	s_cbranch_vccnz .LBB8_1154
; %bb.1151:
	v_cmp_lt_i16_e32 vcc, 3, v11
	s_cbranch_vccz .LBB8_1155
; %bb.1152:
	global_load_dwordx2 v[2:3], v[0:1], off
	s_mov_b64 s[12:13], 0
	s_waitcnt vmcnt(0)
	v_cvt_f64_i32_e32 v[6:7], v3
	v_cvt_f64_u32_e32 v[2:3], v2
	v_ldexp_f64 v[6:7], v[6:7], 32
	v_add_f64 v[2:3], v[6:7], v[2:3]
	s_branch .LBB8_1156
.LBB8_1153:
                                        ; implicit-def: $vgpr2_vgpr3
	s_branch .LBB8_1162
.LBB8_1154:
	s_mov_b64 s[12:13], -1
                                        ; implicit-def: $vgpr2_vgpr3
	s_branch .LBB8_1159
.LBB8_1155:
	s_mov_b64 s[12:13], -1
                                        ; implicit-def: $vgpr2_vgpr3
.LBB8_1156:
	s_andn2_b64 vcc, exec, s[12:13]
	s_cbranch_vccnz .LBB8_1158
; %bb.1157:
	global_load_dword v2, v[0:1], off
	s_waitcnt vmcnt(0)
	v_cvt_f64_i32_e32 v[2:3], v2
.LBB8_1158:
	s_mov_b64 s[12:13], 0
.LBB8_1159:
	s_andn2_b64 vcc, exec, s[12:13]
	s_cbranch_vccnz .LBB8_1161
; %bb.1160:
	global_load_sshort v2, v[0:1], off
	s_waitcnt vmcnt(0)
	v_cvt_f64_i32_e32 v[2:3], v2
.LBB8_1161:
	s_cbranch_execnz .LBB8_1167
.LBB8_1162:
	v_cmp_lt_i16_e32 vcc, 0, v11
	s_cbranch_vccz .LBB8_1164
; %bb.1163:
	global_load_sbyte v2, v[0:1], off
	s_mov_b64 s[12:13], 0
	s_waitcnt vmcnt(0)
	v_cvt_f64_i32_e32 v[2:3], v2
	s_branch .LBB8_1165
.LBB8_1164:
	s_mov_b64 s[12:13], -1
                                        ; implicit-def: $vgpr2_vgpr3
.LBB8_1165:
	s_andn2_b64 vcc, exec, s[12:13]
	s_cbranch_vccnz .LBB8_1167
; %bb.1166:
	global_load_ubyte v0, v[0:1], off
	s_waitcnt vmcnt(0)
	v_cvt_f64_u32_e32 v[2:3], v0
.LBB8_1167:
.LBB8_1168:
	s_mov_b32 s12, 0
	s_mov_b32 s13, 0x40200000
	s_waitcnt vmcnt(0)
	v_cmp_le_f64_e64 s[12:13], |v[2:3]|, s[12:13]
                                        ; implicit-def: $vgpr0_vgpr1
	s_and_saveexec_b64 s[16:17], s[12:13]
	s_xor_b64 s[12:13], exec, s[16:17]
	s_cbranch_execz .LBB8_1170
; %bb.1169:
	s_mov_b32 s16, 0x2134d0ef
	v_fma_f64 v[0:1], |v[2:3]|, 0.5, -2.0
	v_mov_b32_e32 v6, 0x977da589
	v_mov_b32_e32 v7, 0x3c833362
	s_mov_b32 s17, 0xbc545cb7
	v_fmac_f64_e32 v[6:7], s[16:17], v[0:1]
	v_mov_b32_e32 v8, 0x2134d0ef
	v_mov_b32_e32 v9, 0x3c545cb7
	s_mov_b32 s16, 0x721ebbb4
	v_fmac_f64_e32 v[8:9], v[0:1], v[6:7]
	s_mov_b32 s17, 0xbcb184eb
	v_add_f64 v[8:9], v[8:9], s[16:17]
	s_mov_b32 s16, 0x93f65eba
	v_fma_f64 v[6:7], v[0:1], v[8:9], -v[6:7]
	s_mov_b32 s17, 0x3cdee6d8
	v_add_f64 v[6:7], v[6:7], s[16:17]
	s_mov_b32 s16, 0xc297fbeb
	v_fma_f64 v[8:9], v[0:1], v[6:7], -v[8:9]
	;; [unrolled: 4-line block ×27, first 2 shown]
	s_mov_b32 s17, 0x3fe5a84e
	v_add_f64 v[0:1], v[0:1], s[16:17]
	s_mov_b32 s16, 0x652b82fe
	s_mov_b32 s17, 0x3ff71547
	v_mul_f64 v[8:9], |v[2:3]|, s[16:17]
	s_mov_b32 s16, 0xfefa39ef
	v_rndne_f64_e32 v[8:9], v[8:9]
	s_mov_b32 s17, 0xbfe62e42
	v_fma_f64 v[12:13], v[8:9], s[16:17], |v[2:3]|
	s_mov_b32 s16, 0x3b39803f
	s_mov_b32 s17, 0xbc7abc9e
	v_fmac_f64_e32 v[12:13], s[16:17], v[8:9]
	s_mov_b32 s16, 0x6a5dcb37
	v_mov_b32_e32 v16, 0xfca7ab0c
	v_mov_b32_e32 v17, 0x3e928af3
	s_mov_b32 s17, 0x3e5ade15
	v_fmac_f64_e32 v[16:17], s[16:17], v[12:13]
	v_mov_b32_e32 v18, 0x623fde64
	v_mov_b32_e32 v19, 0x3ec71dee
	v_fmac_f64_e32 v[18:19], v[12:13], v[16:17]
	v_mov_b32_e32 v16, 0x7c89e6b0
	v_mov_b32_e32 v17, 0x3efa0199
	;; [unrolled: 3-line block ×8, first 2 shown]
	v_fmac_f64_e32 v[16:17], v[12:13], v[18:19]
	v_fma_f64 v[16:17], v[12:13], v[16:17], 1.0
	s_mov_b32 s16, 0
	v_fma_f64 v[12:13], v[12:13], v[16:17], 1.0
	v_cvt_i32_f64_e32 v5, v[8:9]
	s_mov_b32 s17, 0x40900000
	v_ldexp_f64 v[8:9], v[12:13], v5
	v_mov_b32_e32 v5, 0x7ff00000
	v_cmp_ngt_f64_e64 vcc, |v[2:3]|, s[16:17]
	v_add_f64 v[0:1], v[0:1], -v[6:7]
	v_cndmask_b32_e32 v3, v5, v9, vcc
	v_cndmask_b32_e32 v2, 0, v8, vcc
	v_mul_f64 v[0:1], v[0:1], 0.5
	v_mul_f64 v[0:1], v[2:3], v[0:1]
                                        ; implicit-def: $vgpr2_vgpr3
.LBB8_1170:
	s_andn2_saveexec_b64 s[12:13], s[12:13]
	s_cbranch_execz .LBB8_1172
; %bb.1171:
	s_mov_b32 s16, 0
	v_and_b32_e32 v1, 0x7fffffff, v3
	v_mov_b32_e32 v0, v2
	s_mov_b32 s17, 0x40400000
	v_div_scale_f64 v[6:7], s[18:19], v[0:1], v[0:1], s[16:17]
	v_rcp_f64_e32 v[8:9], v[6:7]
	v_div_scale_f64 v[0:1], vcc, s[16:17], v[0:1], s[16:17]
	v_mov_b32_e32 v16, 0xfca7ab0c
	v_fma_f64 v[12:13], -v[6:7], v[8:9], 1.0
	v_fmac_f64_e32 v[8:9], v[8:9], v[12:13]
	v_fma_f64 v[12:13], -v[6:7], v[8:9], 1.0
	v_fmac_f64_e32 v[8:9], v[8:9], v[12:13]
	v_mul_f64 v[12:13], v[0:1], v[8:9]
	v_fma_f64 v[0:1], -v[6:7], v[12:13], v[0:1]
	v_div_fmas_f64 v[0:1], v[0:1], v[8:9], v[12:13]
	v_div_fixup_f64 v[0:1], v[0:1], |v[2:3]|, s[16:17]
	s_mov_b32 s16, 0x54ca8b19
	v_add_f64 v[0:1], v[0:1], -2.0
	v_mov_b32_e32 v6, 0x66119130
	v_mov_b32_e32 v7, 0xbc5646da
	s_mov_b32 s17, 0xbc60adb7
	v_fmac_f64_e32 v[6:7], s[16:17], v[0:1]
	v_mov_b32_e32 v8, 0x54ca8b19
	v_mov_b32_e32 v9, 0x3c60adb7
	s_mov_b32 s16, 0x12d98421
	v_fmac_f64_e32 v[8:9], v[0:1], v[6:7]
	s_mov_b32 s17, 0x3c89be18
	v_add_f64 v[8:9], v[8:9], s[16:17]
	s_mov_b32 s16, 0x76041cd
	v_fma_f64 v[6:7], v[0:1], v[8:9], -v[6:7]
	s_mov_b32 s17, 0x3c83f3dd
	v_add_f64 v[6:7], v[6:7], s[16:17]
	s_mov_b32 s16, 0xabd21fe4
	v_fma_f64 v[8:9], v[0:1], v[6:7], -v[8:9]
	s_mov_b32 s17, 0xbcb4600b
	v_add_f64 v[8:9], v[8:9], s[16:17]
	s_mov_b32 s16, 0xd908de38
	v_fma_f64 v[6:7], v[0:1], v[8:9], -v[6:7]
	s_mov_b32 s17, 0xbcb8aee7
	v_add_f64 v[6:7], v[6:7], s[16:17]
	s_mov_b32 s16, 0xa3eafb1f
	v_fma_f64 v[8:9], v[0:1], v[6:7], -v[8:9]
	s_mov_b32 s17, 0x3cdfee7d
	v_add_f64 v[8:9], v[8:9], s[16:17]
	s_mov_b32 s16, 0x9094e6d7
	v_fma_f64 v[6:7], v[0:1], v[8:9], -v[6:7]
	s_mov_b32 s17, 0x3cf12a91
	v_add_f64 v[6:7], v[6:7], s[16:17]
	s_mov_b32 s16, 0x7e65629a
	v_fma_f64 v[8:9], v[0:1], v[6:7], -v[8:9]
	s_mov_b32 s17, 0xbd0583fe
	v_add_f64 v[8:9], v[8:9], s[16:17]
	s_mov_b32 s16, 0xcf68bb32
	v_fma_f64 v[6:7], v[0:1], v[8:9], -v[6:7]
	s_mov_b32 s17, 0xbd275d99
	v_add_f64 v[6:7], v[6:7], s[16:17]
	s_mov_b32 s16, 0xd5fc545
	v_fma_f64 v[8:9], v[0:1], v[6:7], -v[8:9]
	s_mov_b32 s17, 0x3d1156ff
	v_add_f64 v[8:9], v[8:9], s[16:17]
	s_mov_b32 s16, 0x6b83c073
	v_fma_f64 v[6:7], v[0:1], v[8:9], -v[6:7]
	s_mov_b32 s17, 0x3d5b1c8c
	v_add_f64 v[6:7], v[6:7], s[16:17]
	s_mov_b32 s16, 0xfa268cec
	v_fma_f64 v[8:9], v[0:1], v[6:7], -v[8:9]
	s_mov_b32 s17, 0x3d694347
	v_add_f64 v[8:9], v[8:9], s[16:17]
	s_mov_b32 s16, 0x3178d66
	v_fma_f64 v[6:7], v[0:1], v[8:9], -v[6:7]
	s_mov_b32 s17, 0xbd7f9043
	v_add_f64 v[6:7], v[6:7], s[16:17]
	s_mov_b32 s16, 0x357e7bf2
	v_fma_f64 v[8:9], v[0:1], v[6:7], -v[8:9]
	s_mov_b32 s17, 0xbdad0fd7
	v_add_f64 v[8:9], v[8:9], s[16:17]
	s_mov_b32 s16, 0x8397425
	v_fma_f64 v[6:7], v[0:1], v[8:9], -v[6:7]
	s_mov_b32 s17, 0xbdc1511d
	v_add_f64 v[6:7], v[6:7], s[16:17]
	s_mov_b32 s16, 0xabe8004f
	v_fma_f64 v[8:9], v[0:1], v[6:7], -v[8:9]
	s_mov_b32 s17, 0x3daa24fe
	v_add_f64 v[8:9], v[8:9], s[16:17]
	s_mov_b32 s16, 0xc0f46f75
	v_fma_f64 v[6:7], v[0:1], v[8:9], -v[6:7]
	s_mov_b32 s17, 0x3e00f9cc
	v_add_f64 v[6:7], v[6:7], s[16:17]
	s_mov_b32 s16, 0xa9225b87
	v_fma_f64 v[8:9], v[0:1], v[6:7], -v[8:9]
	s_mov_b32 s17, 0x3e2d2c64
	v_add_f64 v[8:9], v[8:9], s[16:17]
	s_mov_b32 s16, 0x80d6d56d
	v_fma_f64 v[6:7], v[0:1], v[8:9], -v[6:7]
	s_mov_b32 s17, 0x3e585692
	v_add_f64 v[6:7], v[6:7], s[16:17]
	s_mov_b32 s16, 0xd9cd616e
	v_fma_f64 v[8:9], v[0:1], v[6:7], -v[8:9]
	s_mov_b32 s17, 0x3e8b8007
	v_add_f64 v[8:9], v[8:9], s[16:17]
	s_mov_b32 s16, 0xc101c586
	v_fma_f64 v[6:7], v[0:1], v[8:9], -v[6:7]
	s_mov_b32 s17, 0x3ec8412b
	v_add_f64 v[6:7], v[6:7], s[16:17]
	s_mov_b32 s16, 0x78999e52
	v_fma_f64 v[8:9], v[0:1], v[6:7], -v[8:9]
	s_mov_b32 s17, 0x3f120fa3
	v_add_f64 v[8:9], v[8:9], s[16:17]
	s_mov_b32 s16, 0xa2e59049
	v_fma_f64 v[6:7], v[0:1], v[8:9], -v[6:7]
	s_mov_b32 s17, 0x3f6b998c
	v_add_f64 v[6:7], v[6:7], s[16:17]
	s_mov_b32 s16, 0xaca809cb
	v_fma_f64 v[0:1], v[0:1], v[6:7], -v[8:9]
	s_mov_b32 s17, 0x3fe9be62
	v_add_f64 v[0:1], v[0:1], s[16:17]
	s_mov_b32 s16, 0x652b82fe
	s_mov_b32 s17, 0x3ff71547
	v_mul_f64 v[6:7], |v[2:3]|, s[16:17]
	s_mov_b32 s16, 0xfefa39ef
	v_rndne_f64_e32 v[6:7], v[6:7]
	s_mov_b32 s17, 0xbfe62e42
	v_fma_f64 v[12:13], v[6:7], s[16:17], |v[2:3]|
	s_mov_b32 s16, 0x3b39803f
	s_mov_b32 s17, 0xbc7abc9e
	v_fmac_f64_e32 v[12:13], s[16:17], v[6:7]
	s_mov_b32 s16, 0x6a5dcb37
	v_mov_b32_e32 v17, 0x3e928af3
	s_mov_b32 s17, 0x3e5ade15
	v_fmac_f64_e32 v[16:17], s[16:17], v[12:13]
	v_mov_b32_e32 v18, 0x623fde64
	v_mov_b32_e32 v19, 0x3ec71dee
	v_fmac_f64_e32 v[18:19], v[12:13], v[16:17]
	v_mov_b32_e32 v16, 0x7c89e6b0
	v_mov_b32_e32 v17, 0x3efa0199
	;; [unrolled: 3-line block ×8, first 2 shown]
	v_fmac_f64_e32 v[16:17], v[12:13], v[18:19]
	s_mov_b32 s16, 0
	v_fma_f64 v[16:17], v[12:13], v[16:17], 1.0
	s_mov_b32 s17, 0x40900000
	v_fma_f64 v[12:13], v[12:13], v[16:17], 1.0
	v_cvt_i32_f64_e32 v5, v[6:7]
	v_cmp_ngt_f64_e64 vcc, |v[2:3]|, s[16:17]
	s_mov_b32 s16, 0
	v_ldexp_f64 v[6:7], v[12:13], v5
	v_mov_b32_e32 v5, 0x7ff00000
	s_brev_b32 s17, 8
	v_cndmask_b32_e32 v7, v5, v7, vcc
	v_cndmask_b32_e32 v6, 0, v6, vcc
	v_cmp_lt_f64_e64 vcc, |v[2:3]|, s[16:17]
	v_cndmask_b32_e64 v5, 0, 1, vcc
	v_lshlrev_b32_e32 v5, 8, v5
	v_ldexp_f64 v[2:3], |v[2:3]|, v5
	v_rsq_f64_e32 v[12:13], v[2:3]
	v_add_f64 v[0:1], v[0:1], -v[8:9]
	v_mul_f64 v[0:1], v[0:1], 0.5
	v_mul_f64 v[0:1], v[6:7], v[0:1]
	v_mul_f64 v[6:7], v[2:3], v[12:13]
	v_mul_f64 v[8:9], v[12:13], 0.5
	v_fma_f64 v[12:13], -v[8:9], v[6:7], 0.5
	v_fmac_f64_e32 v[6:7], v[6:7], v[12:13]
	v_fma_f64 v[16:17], -v[6:7], v[6:7], v[2:3]
	v_fmac_f64_e32 v[8:9], v[8:9], v[12:13]
	v_fmac_f64_e32 v[6:7], v[16:17], v[8:9]
	v_fma_f64 v[12:13], -v[6:7], v[6:7], v[2:3]
	v_mov_b32_e32 v5, 0xffffff80
	v_fmac_f64_e32 v[6:7], v[12:13], v[8:9]
	v_cndmask_b32_e32 v5, 0, v5, vcc
	v_ldexp_f64 v[6:7], v[6:7], v5
	v_mov_b32_e32 v5, 0x260
	v_cmp_class_f64_e32 vcc, v[2:3], v5
	v_cndmask_b32_e32 v3, v7, v3, vcc
	v_cndmask_b32_e32 v2, v6, v2, vcc
	v_div_scale_f64 v[6:7], s[16:17], v[2:3], v[2:3], v[0:1]
	v_rcp_f64_e32 v[8:9], v[6:7]
	v_fma_f64 v[12:13], -v[6:7], v[8:9], 1.0
	v_fmac_f64_e32 v[8:9], v[8:9], v[12:13]
	v_fma_f64 v[12:13], -v[6:7], v[8:9], 1.0
	v_fmac_f64_e32 v[8:9], v[8:9], v[12:13]
	v_div_scale_f64 v[12:13], vcc, v[0:1], v[2:3], v[0:1]
	v_mul_f64 v[16:17], v[12:13], v[8:9]
	v_fma_f64 v[6:7], -v[6:7], v[16:17], v[12:13]
	s_nop 1
	v_div_fmas_f64 v[6:7], v[6:7], v[8:9], v[16:17]
	v_div_fixup_f64 v[0:1], v[6:7], v[2:3], v[0:1]
.LBB8_1172:
	s_or_b64 exec, exec, s[12:13]
	s_lshl_b32 s3, s3, 7
	v_add_u32_e32 v6, s3, v4
	v_ashrrev_i32_e32 v2, 31, v6
	v_mov_b32_e32 v3, s11
	v_add_co_u32_e32 v4, vcc, s10, v6
	v_addc_co_u32_e32 v5, vcc, v3, v2, vcc
	s_and_b64 vcc, exec, s[0:1]
	s_cbranch_vccnz .LBB8_1179
; %bb.1173:
	v_cmp_lt_i16_e32 vcc, 25, v11
	s_mov_b64 s[16:17], 0
	s_cbranch_vccz .LBB8_1181
; %bb.1174:
	v_cmp_lt_i16_e32 vcc, 28, v11
	s_cbranch_vccz .LBB8_1182
; %bb.1175:
	v_cmp_lt_i16_e32 vcc, 43, v11
	;; [unrolled: 3-line block ×3, first 2 shown]
	s_cbranch_vccz .LBB8_1185
; %bb.1177:
	v_cmp_eq_u16_e32 vcc, 46, v11
	s_mov_b64 s[20:21], 0
	s_cbranch_vccz .LBB8_1188
; %bb.1178:
	global_load_dword v2, v[4:5], off
	s_mov_b64 s[12:13], 0
	s_mov_b64 s[18:19], -1
	s_waitcnt vmcnt(0)
	v_lshlrev_b32_e32 v2, 16, v2
	v_cvt_f64_f32_e32 v[2:3], v2
	s_branch .LBB8_1189
.LBB8_1179:
	s_mov_b64 s[18:19], 0
                                        ; implicit-def: $vgpr2_vgpr3
	s_cbranch_execnz .LBB8_1254
.LBB8_1180:
	s_andn2_b64 vcc, exec, s[18:19]
	s_cbranch_vccnz .LBB8_1579
	s_branch .LBB8_1301
.LBB8_1181:
	s_mov_b64 s[18:19], 0
	s_mov_b64 s[12:13], 0
                                        ; implicit-def: $vgpr2_vgpr3
	s_cbranch_execnz .LBB8_1218
	s_branch .LBB8_1250
.LBB8_1182:
	s_mov_b64 s[20:21], -1
	s_mov_b64 s[18:19], 0
	s_mov_b64 s[12:13], 0
                                        ; implicit-def: $vgpr2_vgpr3
	s_branch .LBB8_1199
.LBB8_1183:
	s_mov_b64 s[20:21], -1
	s_mov_b64 s[18:19], 0
	s_mov_b64 s[12:13], 0
                                        ; implicit-def: $vgpr2_vgpr3
	s_branch .LBB8_1194
.LBB8_1184:
	s_or_b64 s[14:15], s[6:7], exec
	s_trap 2
                                        ; implicit-def: $vgpr2_vgpr3
	s_cbranch_execz .LBB8_1121
	s_branch .LBB8_1122
.LBB8_1185:
	s_mov_b64 s[20:21], -1
	s_mov_b64 s[18:19], 0
	s_mov_b64 s[12:13], 0
                                        ; implicit-def: $vgpr2_vgpr3
	s_branch .LBB8_1189
.LBB8_1186:
	s_or_saveexec_b64 s[24:25], s[24:25]
                                        ; implicit-def: $sgpr26
	s_xor_b64 exec, exec, s[24:25]
	s_cbranch_execz .LBB8_964
.LBB8_1187:
	s_mov_b32 s26, 0x42800000
	v_add_f32_e64 v3, |v2|, s26
	v_and_b32_e32 v3, 0xff, v3
	v_cmp_ne_u32_e32 vcc, 0, v3
	s_andn2_b64 s[22:23], s[22:23], exec
	s_and_b64 s[28:29], vcc, exec
	s_mov_b32 s26, 0
	s_or_b64 s[22:23], s[22:23], s[28:29]
	s_or_b64 exec, exec, s[24:25]
	v_mov_b32_e32 v7, s26
	s_and_saveexec_b64 s[24:25], s[22:23]
	s_cbranch_execnz .LBB8_965
	s_branch .LBB8_966
.LBB8_1188:
	s_mov_b64 s[12:13], -1
                                        ; implicit-def: $vgpr2_vgpr3
	s_mov_b64 s[18:19], 0
.LBB8_1189:
	s_and_b64 vcc, exec, s[20:21]
	s_cbranch_vccz .LBB8_1193
; %bb.1190:
	v_cmp_eq_u16_e32 vcc, 44, v11
	s_cbranch_vccz .LBB8_1192
; %bb.1191:
	global_load_ubyte v7, v[4:5], off
	s_movk_i32 s18, 0xff
	v_bfrev_b32_e32 v8, 4
	v_mov_b32_e32 v9, 0x7ff80000
	v_bfrev_b32_e32 v12, 28
	s_mov_b64 s[12:13], 0
	s_waitcnt vmcnt(0)
	v_lshlrev_b32_e32 v2, 23, v7
	v_cvt_f64_f32_e32 v[2:3], v2
	v_cmp_ne_u32_e32 vcc, s18, v7
	v_cndmask_b32_e32 v2, v8, v2, vcc
	v_cndmask_b32_e32 v3, v9, v3, vcc
	v_cmp_ne_u32_e32 vcc, 0, v7
	v_cndmask_b32_e32 v3, v12, v3, vcc
	v_cndmask_b32_e32 v2, 0, v2, vcc
	s_mov_b64 s[18:19], -1
	s_branch .LBB8_1193
.LBB8_1192:
	s_mov_b64 s[12:13], -1
                                        ; implicit-def: $vgpr2_vgpr3
.LBB8_1193:
	s_mov_b64 s[20:21], 0
.LBB8_1194:
	s_and_b64 vcc, exec, s[20:21]
	s_cbranch_vccz .LBB8_1198
; %bb.1195:
	v_cmp_eq_u16_e32 vcc, 29, v11
	s_cbranch_vccz .LBB8_1197
; %bb.1196:
	global_load_dwordx2 v[2:3], v[4:5], off
	s_mov_b64 s[12:13], 0
	s_mov_b64 s[18:19], -1
	s_mov_b64 s[20:21], 0
	s_waitcnt vmcnt(0)
	v_cvt_f64_u32_e32 v[8:9], v3
	v_cvt_f64_u32_e32 v[2:3], v2
	v_ldexp_f64 v[8:9], v[8:9], 32
	v_add_f64 v[2:3], v[8:9], v[2:3]
	s_branch .LBB8_1199
.LBB8_1197:
	s_mov_b64 s[12:13], -1
                                        ; implicit-def: $vgpr2_vgpr3
.LBB8_1198:
	s_mov_b64 s[20:21], 0
.LBB8_1199:
	s_and_b64 vcc, exec, s[20:21]
	s_cbranch_vccz .LBB8_1217
; %bb.1200:
	v_cmp_gt_i16_e32 vcc, 27, v11
	s_cbranch_vccnz .LBB8_1203
; %bb.1201:
	v_cmp_lt_i16_e32 vcc, 27, v11
	s_cbranch_vccz .LBB8_1204
; %bb.1202:
	global_load_dword v2, v[4:5], off
	s_mov_b64 s[18:19], 0
	s_waitcnt vmcnt(0)
	v_cvt_f64_u32_e32 v[2:3], v2
	s_branch .LBB8_1205
.LBB8_1203:
	s_mov_b64 s[18:19], -1
                                        ; implicit-def: $vgpr2_vgpr3
	s_branch .LBB8_1208
.LBB8_1204:
	s_mov_b64 s[18:19], -1
                                        ; implicit-def: $vgpr2_vgpr3
.LBB8_1205:
	s_andn2_b64 vcc, exec, s[18:19]
	s_cbranch_vccnz .LBB8_1207
; %bb.1206:
	global_load_ushort v2, v[4:5], off
	s_waitcnt vmcnt(0)
	v_cvt_f64_u32_e32 v[2:3], v2
.LBB8_1207:
	s_mov_b64 s[18:19], 0
.LBB8_1208:
	s_andn2_b64 vcc, exec, s[18:19]
	s_cbranch_vccnz .LBB8_1216
; %bb.1209:
	global_load_ubyte v7, v[4:5], off
	s_movk_i32 s18, 0x7f
                                        ; implicit-def: $sgpr20_sgpr21
	s_waitcnt vmcnt(0)
	v_cmp_lt_i16_e32 vcc, s18, v7
	s_mov_b64 s[18:19], 0
	s_and_saveexec_b64 s[22:23], vcc
	s_xor_b64 s[22:23], exec, s[22:23]
	s_cbranch_execz .LBB8_1229
; %bb.1210:
	s_movk_i32 s18, 0x80
	v_cmp_eq_u16_e32 vcc, s18, v7
	s_mov_b64 s[24:25], -1
                                        ; implicit-def: $sgpr20_sgpr21
	s_and_saveexec_b64 s[18:19], vcc
; %bb.1211:
	s_mov_b32 s21, 0x7ff80000
	s_brev_b32 s20, 4
	s_xor_b64 s[24:25], exec, -1
; %bb.1212:
	s_or_b64 exec, exec, s[18:19]
	s_and_b64 s[18:19], s[24:25], exec
	s_or_saveexec_b64 s[22:23], s[22:23]
	v_pk_mov_b32 v[2:3], s[20:21], s[20:21] op_sel:[0,1]
	s_xor_b64 exec, exec, s[22:23]
	s_cbranch_execnz .LBB8_1230
.LBB8_1213:
	s_or_b64 exec, exec, s[22:23]
	s_and_saveexec_b64 s[20:21], s[18:19]
	s_cbranch_execz .LBB8_1215
.LBB8_1214:
	v_and_b32_e32 v3, 0xffff, v7
	v_lshlrev_b32_e32 v2, 24, v7
	v_and_b32_e32 v7, 7, v3
	v_ffbh_u32_e32 v9, v7
	v_min_u32_e32 v9, 32, v9
	v_subrev_u32_e32 v12, 28, v9
	v_bfe_u32 v8, v3, 3, 4
	v_lshlrev_b32_e32 v3, v12, v3
	v_sub_u32_e32 v9, 29, v9
	v_and_b32_e32 v3, 7, v3
	v_cmp_eq_u32_e32 vcc, 0, v8
	v_cndmask_b32_e32 v8, v8, v9, vcc
	v_cndmask_b32_e32 v3, v7, v3, vcc
	v_mov_b32_e32 v7, 0x3b800000
	v_lshlrev_b32_e32 v3, 20, v3
	v_and_b32_e32 v2, 0x80000000, v2
	v_lshl_add_u32 v7, v8, 23, v7
	v_or3_b32 v2, v2, v7, v3
	v_cvt_f64_f32_e32 v[2:3], v2
.LBB8_1215:
	s_or_b64 exec, exec, s[20:21]
.LBB8_1216:
	s_mov_b64 s[18:19], -1
.LBB8_1217:
	s_branch .LBB8_1250
.LBB8_1218:
	v_cmp_lt_i16_e32 vcc, 22, v11
	s_cbranch_vccz .LBB8_1228
; %bb.1219:
	v_cmp_gt_i16_e32 vcc, 24, v11
	s_cbranch_vccnz .LBB8_1231
; %bb.1220:
	v_cmp_lt_i16_e32 vcc, 24, v11
	s_cbranch_vccz .LBB8_1232
; %bb.1221:
	global_load_ubyte v7, v[4:5], off
	s_movk_i32 s16, 0x7f
                                        ; implicit-def: $sgpr18_sgpr19
	s_waitcnt vmcnt(0)
	v_cmp_lt_i16_e32 vcc, s16, v7
	s_mov_b64 s[16:17], 0
	s_and_saveexec_b64 s[20:21], vcc
	s_xor_b64 s[20:21], exec, s[20:21]
	s_cbranch_execz .LBB8_1244
; %bb.1222:
	s_movk_i32 s16, 0x80
	v_cmp_eq_u16_e32 vcc, s16, v7
	s_mov_b64 s[22:23], -1
                                        ; implicit-def: $sgpr18_sgpr19
	s_and_saveexec_b64 s[16:17], vcc
; %bb.1223:
	s_mov_b32 s19, 0x7ff80000
	s_brev_b32 s18, 4
	s_xor_b64 s[22:23], exec, -1
; %bb.1224:
	s_or_b64 exec, exec, s[16:17]
	s_and_b64 s[16:17], s[22:23], exec
	s_or_saveexec_b64 s[20:21], s[20:21]
	v_pk_mov_b32 v[2:3], s[18:19], s[18:19] op_sel:[0,1]
	s_xor_b64 exec, exec, s[20:21]
	s_cbranch_execnz .LBB8_1245
.LBB8_1225:
	s_or_b64 exec, exec, s[20:21]
	s_and_saveexec_b64 s[18:19], s[16:17]
	s_cbranch_execz .LBB8_1227
.LBB8_1226:
	v_and_b32_e32 v3, 0xffff, v7
	v_lshlrev_b32_e32 v2, 24, v7
	v_and_b32_e32 v7, 3, v3
	v_ffbh_u32_e32 v9, v7
	v_min_u32_e32 v9, 32, v9
	v_subrev_u32_e32 v12, 29, v9
	v_bfe_u32 v8, v3, 2, 5
	v_lshlrev_b32_e32 v3, v12, v3
	v_sub_u32_e32 v9, 30, v9
	v_and_b32_e32 v3, 3, v3
	v_cmp_eq_u32_e32 vcc, 0, v8
	v_cndmask_b32_e32 v8, v8, v9, vcc
	v_cndmask_b32_e32 v3, v7, v3, vcc
	v_mov_b32_e32 v7, 0x37800000
	v_lshlrev_b32_e32 v3, 21, v3
	v_and_b32_e32 v2, 0x80000000, v2
	v_lshl_add_u32 v7, v8, 23, v7
	v_or3_b32 v2, v2, v7, v3
	v_cvt_f64_f32_e32 v[2:3], v2
.LBB8_1227:
	s_or_b64 exec, exec, s[18:19]
	s_mov_b64 s[16:17], 0
	s_branch .LBB8_1233
.LBB8_1228:
	s_mov_b64 s[16:17], -1
                                        ; implicit-def: $vgpr2_vgpr3
	s_branch .LBB8_1239
.LBB8_1229:
	s_or_saveexec_b64 s[22:23], s[22:23]
	v_pk_mov_b32 v[2:3], s[20:21], s[20:21] op_sel:[0,1]
	s_xor_b64 exec, exec, s[22:23]
	s_cbranch_execz .LBB8_1213
.LBB8_1230:
	v_cmp_ne_u16_e32 vcc, 0, v7
	s_andn2_b64 s[18:19], s[18:19], exec
	s_and_b64 s[20:21], vcc, exec
	v_pk_mov_b32 v[2:3], 0, 0
	s_or_b64 s[18:19], s[18:19], s[20:21]
	s_or_b64 exec, exec, s[22:23]
	s_and_saveexec_b64 s[20:21], s[18:19]
	s_cbranch_execnz .LBB8_1214
	s_branch .LBB8_1215
.LBB8_1231:
	s_mov_b64 s[16:17], -1
                                        ; implicit-def: $vgpr2_vgpr3
	s_branch .LBB8_1236
.LBB8_1232:
	s_mov_b64 s[16:17], -1
                                        ; implicit-def: $vgpr2_vgpr3
.LBB8_1233:
	s_and_b64 vcc, exec, s[16:17]
	s_cbranch_vccz .LBB8_1235
; %bb.1234:
	global_load_ubyte v2, v[4:5], off
	s_mov_b32 s16, 0x7f800000
	s_waitcnt vmcnt(0)
	v_lshlrev_b32_e32 v2, 24, v2
	v_and_b32_e32 v3, 0x7f000000, v2
	v_ffbh_u32_e32 v7, v3
	v_min_u32_e32 v7, 32, v7
	v_sub_u32_e64 v7, v7, 4 clamp
	v_lshlrev_b32_e32 v9, v7, v3
	v_lshlrev_b32_e32 v7, 23, v7
	v_lshrrev_b32_e32 v9, 4, v9
	v_add_u32_e32 v8, 0x1000000, v3
	v_sub_u32_e32 v7, v9, v7
	v_ashrrev_i32_e32 v8, 8, v8
	v_add_u32_e32 v7, 0x3c000000, v7
	v_and_or_b32 v7, v8, s16, v7
	v_cmp_ne_u32_e32 vcc, 0, v3
	v_cndmask_b32_e32 v3, 0, v7, vcc
	s_brev_b32 s16, 1
	v_and_or_b32 v2, v2, s16, v3
	v_cvt_f64_f32_e32 v[2:3], v2
.LBB8_1235:
	s_mov_b64 s[16:17], 0
.LBB8_1236:
	s_andn2_b64 vcc, exec, s[16:17]
	s_cbranch_vccnz .LBB8_1238
; %bb.1237:
	global_load_ubyte v2, v[4:5], off
	s_movk_i32 s16, 0x7f00
	s_brev_b32 s17, 16
	s_waitcnt vmcnt(0)
	v_lshlrev_b16_e32 v3, 8, v2
	v_lshlrev_b32_e32 v2, 25, v2
	v_lshrrev_b32_e32 v7, 4, v2
	v_and_or_b32 v8, v3, s16, 0.5
	v_or_b32_e32 v7, 0x70000000, v7
	v_add_f32_e32 v8, -0.5, v8
	v_mul_f32_e32 v7, 0x7800000, v7
	v_cmp_gt_u32_e32 vcc, s17, v2
	v_bfe_i32 v3, v3, 0, 16
	v_cndmask_b32_e32 v2, v7, v8, vcc
	s_brev_b32 s16, 1
	v_and_or_b32 v2, v3, s16, v2
	v_cvt_f64_f32_e32 v[2:3], v2
.LBB8_1238:
	s_mov_b64 s[16:17], 0
	s_mov_b64 s[18:19], -1
.LBB8_1239:
	s_andn2_b64 vcc, exec, s[16:17]
	s_mov_b64 s[16:17], 0
	s_cbranch_vccnz .LBB8_1250
; %bb.1240:
	v_cmp_lt_i16_e32 vcc, 14, v11
	s_cbranch_vccz .LBB8_1243
; %bb.1241:
	v_cmp_eq_u16_e32 vcc, 15, v11
	s_cbranch_vccz .LBB8_1246
; %bb.1242:
	global_load_ushort v2, v[4:5], off
	s_mov_b64 s[12:13], 0
	s_mov_b64 s[18:19], -1
	s_waitcnt vmcnt(0)
	v_lshlrev_b32_e32 v2, 16, v2
	v_cvt_f64_f32_e32 v[2:3], v2
	s_branch .LBB8_1247
.LBB8_1243:
	s_mov_b64 s[20:21], -1
                                        ; implicit-def: $vgpr2_vgpr3
	s_branch .LBB8_1248
.LBB8_1244:
	s_or_saveexec_b64 s[20:21], s[20:21]
	v_pk_mov_b32 v[2:3], s[18:19], s[18:19] op_sel:[0,1]
	s_xor_b64 exec, exec, s[20:21]
	s_cbranch_execz .LBB8_1225
.LBB8_1245:
	v_cmp_ne_u16_e32 vcc, 0, v7
	s_andn2_b64 s[16:17], s[16:17], exec
	s_and_b64 s[18:19], vcc, exec
	v_pk_mov_b32 v[2:3], 0, 0
	s_or_b64 s[16:17], s[16:17], s[18:19]
	s_or_b64 exec, exec, s[20:21]
	s_and_saveexec_b64 s[18:19], s[16:17]
	s_cbranch_execnz .LBB8_1226
	s_branch .LBB8_1227
.LBB8_1246:
	s_mov_b64 s[12:13], -1
                                        ; implicit-def: $vgpr2_vgpr3
.LBB8_1247:
	s_mov_b64 s[20:21], 0
.LBB8_1248:
	s_and_b64 vcc, exec, s[20:21]
	s_cbranch_vccz .LBB8_1250
; %bb.1249:
	v_cmp_ne_u16_e64 s[12:13], 11, v11
	s_mov_b64 s[16:17], -1
                                        ; implicit-def: $vgpr2_vgpr3
.LBB8_1250:
	s_and_b64 vcc, exec, s[12:13]
	s_cbranch_vccnz .LBB8_1317
; %bb.1251:
	s_andn2_b64 vcc, exec, s[16:17]
	s_cbranch_vccnz .LBB8_1253
.LBB8_1252:
	global_load_ubyte v3, v[4:5], off
	v_mov_b32_e32 v7, 0x3ff00000
	v_mov_b32_e32 v2, 0
	s_mov_b64 s[18:19], -1
	s_waitcnt vmcnt(0)
	v_cmp_ne_u16_e32 vcc, 0, v3
	v_cndmask_b32_e32 v3, 0, v7, vcc
.LBB8_1253:
	s_branch .LBB8_1180
.LBB8_1254:
	v_cmp_gt_i16_e32 vcc, 5, v11
	s_cbranch_vccnz .LBB8_1259
; %bb.1255:
	v_cmp_gt_i16_e32 vcc, 8, v11
	s_cbranch_vccnz .LBB8_1260
; %bb.1256:
	;; [unrolled: 3-line block ×3, first 2 shown]
	v_cmp_lt_i16_e32 vcc, 9, v11
	s_cbranch_vccz .LBB8_1262
; %bb.1258:
	global_load_dwordx2 v[2:3], v[4:5], off
	s_mov_b64 s[12:13], 0
	s_branch .LBB8_1263
.LBB8_1259:
                                        ; implicit-def: $vgpr2_vgpr3
	s_branch .LBB8_1281
.LBB8_1260:
	s_mov_b64 s[12:13], -1
                                        ; implicit-def: $vgpr2_vgpr3
	s_branch .LBB8_1269
.LBB8_1261:
	s_mov_b64 s[12:13], -1
                                        ; implicit-def: $vgpr2_vgpr3
	s_branch .LBB8_1266
.LBB8_1262:
	s_mov_b64 s[12:13], -1
                                        ; implicit-def: $vgpr2_vgpr3
.LBB8_1263:
	s_andn2_b64 vcc, exec, s[12:13]
	s_cbranch_vccnz .LBB8_1265
; %bb.1264:
	global_load_dword v2, v[4:5], off
	s_waitcnt vmcnt(0)
	v_cvt_f64_f32_e32 v[2:3], v2
.LBB8_1265:
	s_mov_b64 s[12:13], 0
.LBB8_1266:
	s_andn2_b64 vcc, exec, s[12:13]
	s_cbranch_vccnz .LBB8_1268
; %bb.1267:
	global_load_dword v2, v[4:5], off
	s_waitcnt vmcnt(0)
	v_cvt_f32_f16_e32 v2, v2
	v_cvt_f64_f32_e32 v[2:3], v2
.LBB8_1268:
	s_mov_b64 s[12:13], 0
.LBB8_1269:
	s_andn2_b64 vcc, exec, s[12:13]
	s_cbranch_vccnz .LBB8_1280
; %bb.1270:
	v_cmp_gt_i16_e32 vcc, 6, v11
	s_cbranch_vccnz .LBB8_1273
; %bb.1271:
	v_cmp_lt_i16_e32 vcc, 6, v11
	s_cbranch_vccz .LBB8_1274
; %bb.1272:
	global_load_dwordx2 v[2:3], v[4:5], off
	s_mov_b64 s[12:13], 0
	s_branch .LBB8_1275
.LBB8_1273:
	s_mov_b64 s[12:13], -1
                                        ; implicit-def: $vgpr2_vgpr3
	s_branch .LBB8_1278
.LBB8_1274:
	s_mov_b64 s[12:13], -1
                                        ; implicit-def: $vgpr2_vgpr3
.LBB8_1275:
	s_andn2_b64 vcc, exec, s[12:13]
	s_cbranch_vccnz .LBB8_1277
; %bb.1276:
	global_load_dword v2, v[4:5], off
	s_waitcnt vmcnt(0)
	v_cvt_f64_f32_e32 v[2:3], v2
.LBB8_1277:
	s_mov_b64 s[12:13], 0
.LBB8_1278:
	s_andn2_b64 vcc, exec, s[12:13]
	s_cbranch_vccnz .LBB8_1280
; %bb.1279:
	global_load_ushort v2, v[4:5], off
	s_waitcnt vmcnt(0)
	v_cvt_f32_f16_e32 v2, v2
	v_cvt_f64_f32_e32 v[2:3], v2
.LBB8_1280:
	s_cbranch_execnz .LBB8_1300
.LBB8_1281:
	v_cmp_gt_i16_e32 vcc, 2, v11
	s_cbranch_vccnz .LBB8_1285
; %bb.1282:
	v_cmp_gt_i16_e32 vcc, 3, v11
	s_cbranch_vccnz .LBB8_1286
; %bb.1283:
	v_cmp_lt_i16_e32 vcc, 3, v11
	s_cbranch_vccz .LBB8_1287
; %bb.1284:
	global_load_dwordx2 v[2:3], v[4:5], off
	s_mov_b64 s[12:13], 0
	s_waitcnt vmcnt(0)
	v_cvt_f64_i32_e32 v[8:9], v3
	v_cvt_f64_u32_e32 v[2:3], v2
	v_ldexp_f64 v[8:9], v[8:9], 32
	v_add_f64 v[2:3], v[8:9], v[2:3]
	s_branch .LBB8_1288
.LBB8_1285:
	s_mov_b64 s[12:13], -1
                                        ; implicit-def: $vgpr2_vgpr3
	s_branch .LBB8_1294
.LBB8_1286:
	s_mov_b64 s[12:13], -1
                                        ; implicit-def: $vgpr2_vgpr3
	s_branch .LBB8_1291
.LBB8_1287:
	s_mov_b64 s[12:13], -1
                                        ; implicit-def: $vgpr2_vgpr3
.LBB8_1288:
	s_andn2_b64 vcc, exec, s[12:13]
	s_cbranch_vccnz .LBB8_1290
; %bb.1289:
	global_load_dword v2, v[4:5], off
	s_waitcnt vmcnt(0)
	v_cvt_f64_i32_e32 v[2:3], v2
.LBB8_1290:
	s_mov_b64 s[12:13], 0
.LBB8_1291:
	s_andn2_b64 vcc, exec, s[12:13]
	s_cbranch_vccnz .LBB8_1293
; %bb.1292:
	global_load_sshort v2, v[4:5], off
	s_waitcnt vmcnt(0)
	v_cvt_f64_i32_e32 v[2:3], v2
.LBB8_1293:
	s_mov_b64 s[12:13], 0
.LBB8_1294:
	s_andn2_b64 vcc, exec, s[12:13]
	s_cbranch_vccnz .LBB8_1300
; %bb.1295:
	v_cmp_lt_i16_e32 vcc, 0, v11
	s_cbranch_vccz .LBB8_1297
; %bb.1296:
	global_load_sbyte v2, v[4:5], off
	s_mov_b64 s[12:13], 0
	s_waitcnt vmcnt(0)
	v_cvt_f64_i32_e32 v[2:3], v2
	s_branch .LBB8_1298
.LBB8_1297:
	s_mov_b64 s[12:13], -1
                                        ; implicit-def: $vgpr2_vgpr3
.LBB8_1298:
	s_andn2_b64 vcc, exec, s[12:13]
	s_cbranch_vccnz .LBB8_1300
; %bb.1299:
	global_load_ubyte v2, v[4:5], off
	s_waitcnt vmcnt(0)
	v_cvt_f64_u32_e32 v[2:3], v2
.LBB8_1300:
.LBB8_1301:
	s_mov_b32 s12, 0
	s_mov_b32 s13, 0x40200000
	s_waitcnt vmcnt(0)
	v_cmp_le_f64_e64 s[12:13], |v[2:3]|, s[12:13]
                                        ; implicit-def: $vgpr4_vgpr5
	s_and_saveexec_b64 s[16:17], s[12:13]
	s_xor_b64 s[12:13], exec, s[16:17]
	s_cbranch_execz .LBB8_1303
; %bb.1302:
	s_mov_b32 s16, 0x2134d0ef
	v_fma_f64 v[4:5], |v[2:3]|, 0.5, -2.0
	v_mov_b32_e32 v8, 0x977da589
	v_mov_b32_e32 v9, 0x3c833362
	s_mov_b32 s17, 0xbc545cb7
	v_fmac_f64_e32 v[8:9], s[16:17], v[4:5]
	v_mov_b32_e32 v12, 0x2134d0ef
	v_mov_b32_e32 v13, 0x3c545cb7
	s_mov_b32 s16, 0x721ebbb4
	v_fmac_f64_e32 v[12:13], v[4:5], v[8:9]
	s_mov_b32 s17, 0xbcb184eb
	v_add_f64 v[12:13], v[12:13], s[16:17]
	s_mov_b32 s16, 0x93f65eba
	v_fma_f64 v[8:9], v[4:5], v[12:13], -v[8:9]
	s_mov_b32 s17, 0x3cdee6d8
	v_add_f64 v[8:9], v[8:9], s[16:17]
	s_mov_b32 s16, 0xc297fbeb
	v_fma_f64 v[12:13], v[4:5], v[8:9], -v[12:13]
	;; [unrolled: 4-line block ×27, first 2 shown]
	s_mov_b32 s17, 0x3fe5a84e
	v_add_f64 v[4:5], v[4:5], s[16:17]
	s_mov_b32 s16, 0x652b82fe
	s_mov_b32 s17, 0x3ff71547
	v_mul_f64 v[12:13], |v[2:3]|, s[16:17]
	s_mov_b32 s16, 0xfefa39ef
	v_rndne_f64_e32 v[12:13], v[12:13]
	s_mov_b32 s17, 0xbfe62e42
	v_fma_f64 v[16:17], v[12:13], s[16:17], |v[2:3]|
	s_mov_b32 s16, 0x3b39803f
	s_mov_b32 s17, 0xbc7abc9e
	v_fmac_f64_e32 v[16:17], s[16:17], v[12:13]
	s_mov_b32 s16, 0x6a5dcb37
	v_mov_b32_e32 v18, 0xfca7ab0c
	v_mov_b32_e32 v19, 0x3e928af3
	s_mov_b32 s17, 0x3e5ade15
	v_fmac_f64_e32 v[18:19], s[16:17], v[16:17]
	v_mov_b32_e32 v20, 0x623fde64
	v_mov_b32_e32 v21, 0x3ec71dee
	v_fmac_f64_e32 v[20:21], v[16:17], v[18:19]
	v_mov_b32_e32 v18, 0x7c89e6b0
	v_mov_b32_e32 v19, 0x3efa0199
	;; [unrolled: 3-line block ×8, first 2 shown]
	v_fmac_f64_e32 v[18:19], v[16:17], v[20:21]
	v_fma_f64 v[18:19], v[16:17], v[18:19], 1.0
	s_mov_b32 s16, 0
	v_fma_f64 v[16:17], v[16:17], v[18:19], 1.0
	v_cvt_i32_f64_e32 v7, v[12:13]
	s_mov_b32 s17, 0x40900000
	v_ldexp_f64 v[12:13], v[16:17], v7
	v_mov_b32_e32 v7, 0x7ff00000
	v_cmp_ngt_f64_e64 vcc, |v[2:3]|, s[16:17]
	v_add_f64 v[4:5], v[4:5], -v[8:9]
	v_cndmask_b32_e32 v3, v7, v13, vcc
	v_cndmask_b32_e32 v2, 0, v12, vcc
	v_mul_f64 v[4:5], v[4:5], 0.5
	v_mul_f64 v[4:5], v[2:3], v[4:5]
                                        ; implicit-def: $vgpr2_vgpr3
.LBB8_1303:
	s_andn2_saveexec_b64 s[12:13], s[12:13]
	s_cbranch_execz .LBB8_1305
; %bb.1304:
	s_mov_b32 s16, 0
	v_and_b32_e32 v5, 0x7fffffff, v3
	v_mov_b32_e32 v4, v2
	s_mov_b32 s17, 0x40400000
	v_div_scale_f64 v[8:9], s[18:19], v[4:5], v[4:5], s[16:17]
	v_rcp_f64_e32 v[12:13], v[8:9]
	v_div_scale_f64 v[4:5], vcc, s[16:17], v[4:5], s[16:17]
	v_mov_b32_e32 v18, 0xfca7ab0c
	v_fma_f64 v[16:17], -v[8:9], v[12:13], 1.0
	v_fmac_f64_e32 v[12:13], v[12:13], v[16:17]
	v_fma_f64 v[16:17], -v[8:9], v[12:13], 1.0
	v_fmac_f64_e32 v[12:13], v[12:13], v[16:17]
	v_mul_f64 v[16:17], v[4:5], v[12:13]
	v_fma_f64 v[4:5], -v[8:9], v[16:17], v[4:5]
	v_div_fmas_f64 v[4:5], v[4:5], v[12:13], v[16:17]
	v_div_fixup_f64 v[4:5], v[4:5], |v[2:3]|, s[16:17]
	s_mov_b32 s16, 0x54ca8b19
	v_add_f64 v[4:5], v[4:5], -2.0
	v_mov_b32_e32 v8, 0x66119130
	v_mov_b32_e32 v9, 0xbc5646da
	s_mov_b32 s17, 0xbc60adb7
	v_fmac_f64_e32 v[8:9], s[16:17], v[4:5]
	v_mov_b32_e32 v12, 0x54ca8b19
	v_mov_b32_e32 v13, 0x3c60adb7
	s_mov_b32 s16, 0x12d98421
	v_fmac_f64_e32 v[12:13], v[4:5], v[8:9]
	s_mov_b32 s17, 0x3c89be18
	v_add_f64 v[12:13], v[12:13], s[16:17]
	s_mov_b32 s16, 0x76041cd
	v_fma_f64 v[8:9], v[4:5], v[12:13], -v[8:9]
	s_mov_b32 s17, 0x3c83f3dd
	v_add_f64 v[8:9], v[8:9], s[16:17]
	s_mov_b32 s16, 0xabd21fe4
	v_fma_f64 v[12:13], v[4:5], v[8:9], -v[12:13]
	;; [unrolled: 4-line block ×22, first 2 shown]
	s_mov_b32 s17, 0x3fe9be62
	v_add_f64 v[4:5], v[4:5], s[16:17]
	s_mov_b32 s16, 0x652b82fe
	s_mov_b32 s17, 0x3ff71547
	v_mul_f64 v[8:9], |v[2:3]|, s[16:17]
	s_mov_b32 s16, 0xfefa39ef
	v_rndne_f64_e32 v[8:9], v[8:9]
	s_mov_b32 s17, 0xbfe62e42
	v_fma_f64 v[16:17], v[8:9], s[16:17], |v[2:3]|
	s_mov_b32 s16, 0x3b39803f
	s_mov_b32 s17, 0xbc7abc9e
	v_fmac_f64_e32 v[16:17], s[16:17], v[8:9]
	s_mov_b32 s16, 0x6a5dcb37
	v_mov_b32_e32 v19, 0x3e928af3
	s_mov_b32 s17, 0x3e5ade15
	v_fmac_f64_e32 v[18:19], s[16:17], v[16:17]
	v_mov_b32_e32 v20, 0x623fde64
	v_mov_b32_e32 v21, 0x3ec71dee
	v_fmac_f64_e32 v[20:21], v[16:17], v[18:19]
	v_mov_b32_e32 v18, 0x7c89e6b0
	v_mov_b32_e32 v19, 0x3efa0199
	;; [unrolled: 3-line block ×8, first 2 shown]
	v_fmac_f64_e32 v[18:19], v[16:17], v[20:21]
	s_mov_b32 s16, 0
	v_fma_f64 v[18:19], v[16:17], v[18:19], 1.0
	s_mov_b32 s17, 0x40900000
	v_fma_f64 v[16:17], v[16:17], v[18:19], 1.0
	v_cvt_i32_f64_e32 v7, v[8:9]
	v_cmp_ngt_f64_e64 vcc, |v[2:3]|, s[16:17]
	s_mov_b32 s16, 0
	v_ldexp_f64 v[8:9], v[16:17], v7
	v_mov_b32_e32 v7, 0x7ff00000
	s_brev_b32 s17, 8
	v_cndmask_b32_e32 v9, v7, v9, vcc
	v_cndmask_b32_e32 v8, 0, v8, vcc
	v_cmp_lt_f64_e64 vcc, |v[2:3]|, s[16:17]
	v_cndmask_b32_e64 v7, 0, 1, vcc
	v_lshlrev_b32_e32 v7, 8, v7
	v_ldexp_f64 v[2:3], |v[2:3]|, v7
	v_rsq_f64_e32 v[16:17], v[2:3]
	v_add_f64 v[4:5], v[4:5], -v[12:13]
	v_mul_f64 v[4:5], v[4:5], 0.5
	v_mul_f64 v[4:5], v[8:9], v[4:5]
	v_mul_f64 v[8:9], v[2:3], v[16:17]
	v_mul_f64 v[12:13], v[16:17], 0.5
	v_fma_f64 v[16:17], -v[12:13], v[8:9], 0.5
	v_fmac_f64_e32 v[8:9], v[8:9], v[16:17]
	v_fma_f64 v[18:19], -v[8:9], v[8:9], v[2:3]
	v_fmac_f64_e32 v[12:13], v[12:13], v[16:17]
	v_fmac_f64_e32 v[8:9], v[18:19], v[12:13]
	v_fma_f64 v[16:17], -v[8:9], v[8:9], v[2:3]
	v_mov_b32_e32 v7, 0xffffff80
	v_fmac_f64_e32 v[8:9], v[16:17], v[12:13]
	v_cndmask_b32_e32 v7, 0, v7, vcc
	v_ldexp_f64 v[8:9], v[8:9], v7
	v_mov_b32_e32 v7, 0x260
	v_cmp_class_f64_e32 vcc, v[2:3], v7
	v_cndmask_b32_e32 v3, v9, v3, vcc
	v_cndmask_b32_e32 v2, v8, v2, vcc
	v_div_scale_f64 v[8:9], s[16:17], v[2:3], v[2:3], v[4:5]
	v_rcp_f64_e32 v[12:13], v[8:9]
	v_fma_f64 v[16:17], -v[8:9], v[12:13], 1.0
	v_fmac_f64_e32 v[12:13], v[12:13], v[16:17]
	v_fma_f64 v[16:17], -v[8:9], v[12:13], 1.0
	v_fmac_f64_e32 v[12:13], v[12:13], v[16:17]
	v_div_scale_f64 v[16:17], vcc, v[4:5], v[2:3], v[4:5]
	v_mul_f64 v[18:19], v[16:17], v[12:13]
	v_fma_f64 v[8:9], -v[8:9], v[18:19], v[16:17]
	s_nop 1
	v_div_fmas_f64 v[8:9], v[8:9], v[12:13], v[18:19]
	v_div_fixup_f64 v[4:5], v[8:9], v[2:3], v[4:5]
.LBB8_1305:
	s_or_b64 exec, exec, s[12:13]
	v_add_u32_e32 v12, s3, v6
	v_ashrrev_i32_e32 v2, 31, v12
	v_mov_b32_e32 v3, s11
	v_add_co_u32_e32 v6, vcc, s10, v12
	v_addc_co_u32_e32 v7, vcc, v3, v2, vcc
	s_and_b64 vcc, exec, s[0:1]
	s_cbranch_vccnz .LBB8_1312
; %bb.1306:
	v_cmp_lt_i16_e32 vcc, 25, v11
	s_mov_b64 s[16:17], 0
	s_cbranch_vccz .LBB8_1314
; %bb.1307:
	v_cmp_lt_i16_e32 vcc, 28, v11
	s_cbranch_vccz .LBB8_1315
; %bb.1308:
	v_cmp_lt_i16_e32 vcc, 43, v11
	;; [unrolled: 3-line block ×3, first 2 shown]
	s_cbranch_vccz .LBB8_1318
; %bb.1310:
	v_cmp_eq_u16_e32 vcc, 46, v11
	s_mov_b64 s[20:21], 0
	s_cbranch_vccz .LBB8_1319
; %bb.1311:
	global_load_dword v2, v[6:7], off
	s_mov_b64 s[12:13], 0
	s_mov_b64 s[18:19], -1
	s_waitcnt vmcnt(0)
	v_lshlrev_b32_e32 v2, 16, v2
	v_cvt_f64_f32_e32 v[2:3], v2
	s_branch .LBB8_1320
.LBB8_1312:
	s_mov_b64 s[18:19], 0
                                        ; implicit-def: $vgpr2_vgpr3
	s_cbranch_execnz .LBB8_1386
.LBB8_1313:
	s_andn2_b64 vcc, exec, s[18:19]
	s_cbranch_vccnz .LBB8_1579
	s_branch .LBB8_1434
.LBB8_1314:
	s_mov_b64 s[20:21], -1
	s_mov_b64 s[18:19], 0
	s_mov_b64 s[12:13], 0
                                        ; implicit-def: $vgpr2_vgpr3
	s_branch .LBB8_1349
.LBB8_1315:
	s_mov_b64 s[20:21], -1
	s_mov_b64 s[18:19], 0
	s_mov_b64 s[12:13], 0
                                        ; implicit-def: $vgpr2_vgpr3
	s_branch .LBB8_1330
.LBB8_1316:
	s_mov_b64 s[20:21], -1
	s_mov_b64 s[18:19], 0
	s_mov_b64 s[12:13], 0
                                        ; implicit-def: $vgpr2_vgpr3
	s_branch .LBB8_1325
.LBB8_1317:
	s_trap 2
	s_or_b64 s[14:15], s[14:15], exec
                                        ; implicit-def: $vgpr2_vgpr3
	s_cbranch_execz .LBB8_1252
	s_branch .LBB8_1253
.LBB8_1318:
	s_mov_b64 s[20:21], -1
	s_mov_b64 s[18:19], 0
	s_mov_b64 s[12:13], 0
                                        ; implicit-def: $vgpr2_vgpr3
	s_branch .LBB8_1320
.LBB8_1319:
	s_mov_b64 s[12:13], -1
                                        ; implicit-def: $vgpr2_vgpr3
	s_mov_b64 s[18:19], 0
.LBB8_1320:
	s_and_b64 vcc, exec, s[20:21]
	s_cbranch_vccz .LBB8_1324
; %bb.1321:
	v_cmp_eq_u16_e32 vcc, 44, v11
	s_cbranch_vccz .LBB8_1323
; %bb.1322:
	global_load_ubyte v8, v[6:7], off
	s_movk_i32 s18, 0xff
	v_bfrev_b32_e32 v9, 4
	v_mov_b32_e32 v13, 0x7ff80000
	v_bfrev_b32_e32 v15, 28
	s_mov_b64 s[12:13], 0
	s_waitcnt vmcnt(0)
	v_lshlrev_b32_e32 v2, 23, v8
	v_cvt_f64_f32_e32 v[2:3], v2
	v_cmp_ne_u32_e32 vcc, s18, v8
	v_cndmask_b32_e32 v2, v9, v2, vcc
	v_cndmask_b32_e32 v3, v13, v3, vcc
	v_cmp_ne_u32_e32 vcc, 0, v8
	v_cndmask_b32_e32 v3, v15, v3, vcc
	v_cndmask_b32_e32 v2, 0, v2, vcc
	s_mov_b64 s[18:19], -1
	s_branch .LBB8_1324
.LBB8_1323:
	s_mov_b64 s[12:13], -1
                                        ; implicit-def: $vgpr2_vgpr3
.LBB8_1324:
	s_mov_b64 s[20:21], 0
.LBB8_1325:
	s_and_b64 vcc, exec, s[20:21]
	s_cbranch_vccz .LBB8_1329
; %bb.1326:
	v_cmp_eq_u16_e32 vcc, 29, v11
	s_cbranch_vccz .LBB8_1328
; %bb.1327:
	global_load_dwordx2 v[2:3], v[6:7], off
	s_mov_b64 s[12:13], 0
	s_mov_b64 s[18:19], -1
	s_mov_b64 s[20:21], 0
	s_waitcnt vmcnt(0)
	v_cvt_f64_u32_e32 v[8:9], v3
	v_cvt_f64_u32_e32 v[2:3], v2
	v_ldexp_f64 v[8:9], v[8:9], 32
	v_add_f64 v[2:3], v[8:9], v[2:3]
	s_branch .LBB8_1330
.LBB8_1328:
	s_mov_b64 s[12:13], -1
                                        ; implicit-def: $vgpr2_vgpr3
.LBB8_1329:
	s_mov_b64 s[20:21], 0
.LBB8_1330:
	s_and_b64 vcc, exec, s[20:21]
	s_cbranch_vccz .LBB8_1348
; %bb.1331:
	v_cmp_gt_i16_e32 vcc, 27, v11
	s_cbranch_vccnz .LBB8_1334
; %bb.1332:
	v_cmp_lt_i16_e32 vcc, 27, v11
	s_cbranch_vccz .LBB8_1335
; %bb.1333:
	global_load_dword v2, v[6:7], off
	s_mov_b64 s[18:19], 0
	s_waitcnt vmcnt(0)
	v_cvt_f64_u32_e32 v[2:3], v2
	s_branch .LBB8_1336
.LBB8_1334:
	s_mov_b64 s[18:19], -1
                                        ; implicit-def: $vgpr2_vgpr3
	s_branch .LBB8_1339
.LBB8_1335:
	s_mov_b64 s[18:19], -1
                                        ; implicit-def: $vgpr2_vgpr3
.LBB8_1336:
	s_andn2_b64 vcc, exec, s[18:19]
	s_cbranch_vccnz .LBB8_1338
; %bb.1337:
	global_load_ushort v2, v[6:7], off
	s_waitcnt vmcnt(0)
	v_cvt_f64_u32_e32 v[2:3], v2
.LBB8_1338:
	s_mov_b64 s[18:19], 0
.LBB8_1339:
	s_andn2_b64 vcc, exec, s[18:19]
	s_cbranch_vccnz .LBB8_1347
; %bb.1340:
	global_load_ubyte v8, v[6:7], off
	s_movk_i32 s18, 0x7f
                                        ; implicit-def: $sgpr20_sgpr21
	s_waitcnt vmcnt(0)
	v_cmp_lt_i16_e32 vcc, s18, v8
	s_mov_b64 s[18:19], 0
	s_and_saveexec_b64 s[22:23], vcc
	s_xor_b64 s[22:23], exec, s[22:23]
	s_cbranch_execz .LBB8_1361
; %bb.1341:
	s_movk_i32 s18, 0x80
	v_cmp_eq_u16_e32 vcc, s18, v8
	s_mov_b64 s[24:25], -1
                                        ; implicit-def: $sgpr20_sgpr21
	s_and_saveexec_b64 s[18:19], vcc
; %bb.1342:
	s_mov_b32 s21, 0x7ff80000
	s_brev_b32 s20, 4
	s_xor_b64 s[24:25], exec, -1
; %bb.1343:
	s_or_b64 exec, exec, s[18:19]
	s_and_b64 s[18:19], s[24:25], exec
	s_or_saveexec_b64 s[22:23], s[22:23]
	v_pk_mov_b32 v[2:3], s[20:21], s[20:21] op_sel:[0,1]
	s_xor_b64 exec, exec, s[22:23]
	s_cbranch_execnz .LBB8_1362
.LBB8_1344:
	s_or_b64 exec, exec, s[22:23]
	s_and_saveexec_b64 s[20:21], s[18:19]
	s_cbranch_execz .LBB8_1346
.LBB8_1345:
	v_and_b32_e32 v3, 0xffff, v8
	v_lshlrev_b32_e32 v2, 24, v8
	v_and_b32_e32 v8, 7, v3
	v_ffbh_u32_e32 v13, v8
	v_min_u32_e32 v13, 32, v13
	v_subrev_u32_e32 v15, 28, v13
	v_bfe_u32 v9, v3, 3, 4
	v_lshlrev_b32_e32 v3, v15, v3
	v_sub_u32_e32 v13, 29, v13
	v_and_b32_e32 v3, 7, v3
	v_cmp_eq_u32_e32 vcc, 0, v9
	v_cndmask_b32_e32 v9, v9, v13, vcc
	v_cndmask_b32_e32 v3, v8, v3, vcc
	v_mov_b32_e32 v8, 0x3b800000
	v_lshlrev_b32_e32 v3, 20, v3
	v_and_b32_e32 v2, 0x80000000, v2
	v_lshl_add_u32 v8, v9, 23, v8
	v_or3_b32 v2, v2, v8, v3
	v_cvt_f64_f32_e32 v[2:3], v2
.LBB8_1346:
	s_or_b64 exec, exec, s[20:21]
.LBB8_1347:
	s_mov_b64 s[18:19], -1
.LBB8_1348:
	s_mov_b64 s[20:21], 0
.LBB8_1349:
	s_and_b64 vcc, exec, s[20:21]
	s_cbranch_vccz .LBB8_1382
; %bb.1350:
	v_cmp_lt_i16_e32 vcc, 22, v11
	s_cbranch_vccz .LBB8_1360
; %bb.1351:
	v_cmp_gt_i16_e32 vcc, 24, v11
	s_cbranch_vccnz .LBB8_1363
; %bb.1352:
	v_cmp_lt_i16_e32 vcc, 24, v11
	s_cbranch_vccz .LBB8_1364
; %bb.1353:
	global_load_ubyte v8, v[6:7], off
	s_movk_i32 s16, 0x7f
                                        ; implicit-def: $sgpr18_sgpr19
	s_waitcnt vmcnt(0)
	v_cmp_lt_i16_e32 vcc, s16, v8
	s_mov_b64 s[16:17], 0
	s_and_saveexec_b64 s[20:21], vcc
	s_xor_b64 s[20:21], exec, s[20:21]
	s_cbranch_execz .LBB8_1376
; %bb.1354:
	s_movk_i32 s16, 0x80
	v_cmp_eq_u16_e32 vcc, s16, v8
	s_mov_b64 s[22:23], -1
                                        ; implicit-def: $sgpr18_sgpr19
	s_and_saveexec_b64 s[16:17], vcc
; %bb.1355:
	s_mov_b32 s19, 0x7ff80000
	s_brev_b32 s18, 4
	s_xor_b64 s[22:23], exec, -1
; %bb.1356:
	s_or_b64 exec, exec, s[16:17]
	s_and_b64 s[16:17], s[22:23], exec
	s_or_saveexec_b64 s[20:21], s[20:21]
	v_pk_mov_b32 v[2:3], s[18:19], s[18:19] op_sel:[0,1]
	s_xor_b64 exec, exec, s[20:21]
	s_cbranch_execnz .LBB8_1377
.LBB8_1357:
	s_or_b64 exec, exec, s[20:21]
	s_and_saveexec_b64 s[18:19], s[16:17]
	s_cbranch_execz .LBB8_1359
.LBB8_1358:
	v_and_b32_e32 v3, 0xffff, v8
	v_lshlrev_b32_e32 v2, 24, v8
	v_and_b32_e32 v8, 3, v3
	v_ffbh_u32_e32 v13, v8
	v_min_u32_e32 v13, 32, v13
	v_subrev_u32_e32 v15, 29, v13
	v_bfe_u32 v9, v3, 2, 5
	v_lshlrev_b32_e32 v3, v15, v3
	v_sub_u32_e32 v13, 30, v13
	v_and_b32_e32 v3, 3, v3
	v_cmp_eq_u32_e32 vcc, 0, v9
	v_cndmask_b32_e32 v9, v9, v13, vcc
	v_cndmask_b32_e32 v3, v8, v3, vcc
	v_mov_b32_e32 v8, 0x37800000
	v_lshlrev_b32_e32 v3, 21, v3
	v_and_b32_e32 v2, 0x80000000, v2
	v_lshl_add_u32 v8, v9, 23, v8
	v_or3_b32 v2, v2, v8, v3
	v_cvt_f64_f32_e32 v[2:3], v2
.LBB8_1359:
	s_or_b64 exec, exec, s[18:19]
	s_mov_b64 s[16:17], 0
	s_branch .LBB8_1365
.LBB8_1360:
	s_mov_b64 s[16:17], -1
                                        ; implicit-def: $vgpr2_vgpr3
	s_branch .LBB8_1371
.LBB8_1361:
	s_or_saveexec_b64 s[22:23], s[22:23]
	v_pk_mov_b32 v[2:3], s[20:21], s[20:21] op_sel:[0,1]
	s_xor_b64 exec, exec, s[22:23]
	s_cbranch_execz .LBB8_1344
.LBB8_1362:
	v_cmp_ne_u16_e32 vcc, 0, v8
	s_andn2_b64 s[18:19], s[18:19], exec
	s_and_b64 s[20:21], vcc, exec
	v_pk_mov_b32 v[2:3], 0, 0
	s_or_b64 s[18:19], s[18:19], s[20:21]
	s_or_b64 exec, exec, s[22:23]
	s_and_saveexec_b64 s[20:21], s[18:19]
	s_cbranch_execnz .LBB8_1345
	s_branch .LBB8_1346
.LBB8_1363:
	s_mov_b64 s[16:17], -1
                                        ; implicit-def: $vgpr2_vgpr3
	s_branch .LBB8_1368
.LBB8_1364:
	s_mov_b64 s[16:17], -1
                                        ; implicit-def: $vgpr2_vgpr3
.LBB8_1365:
	s_and_b64 vcc, exec, s[16:17]
	s_cbranch_vccz .LBB8_1367
; %bb.1366:
	global_load_ubyte v2, v[6:7], off
	s_mov_b32 s16, 0x7f800000
	s_waitcnt vmcnt(0)
	v_lshlrev_b32_e32 v2, 24, v2
	v_and_b32_e32 v3, 0x7f000000, v2
	v_ffbh_u32_e32 v8, v3
	v_min_u32_e32 v8, 32, v8
	v_sub_u32_e64 v8, v8, 4 clamp
	v_lshlrev_b32_e32 v13, v8, v3
	v_lshlrev_b32_e32 v8, 23, v8
	v_lshrrev_b32_e32 v13, 4, v13
	v_add_u32_e32 v9, 0x1000000, v3
	v_sub_u32_e32 v8, v13, v8
	v_ashrrev_i32_e32 v9, 8, v9
	v_add_u32_e32 v8, 0x3c000000, v8
	v_and_or_b32 v8, v9, s16, v8
	v_cmp_ne_u32_e32 vcc, 0, v3
	v_cndmask_b32_e32 v3, 0, v8, vcc
	s_brev_b32 s16, 1
	v_and_or_b32 v2, v2, s16, v3
	v_cvt_f64_f32_e32 v[2:3], v2
.LBB8_1367:
	s_mov_b64 s[16:17], 0
.LBB8_1368:
	s_andn2_b64 vcc, exec, s[16:17]
	s_cbranch_vccnz .LBB8_1370
; %bb.1369:
	global_load_ubyte v2, v[6:7], off
	s_movk_i32 s16, 0x7f00
	s_brev_b32 s17, 16
	s_waitcnt vmcnt(0)
	v_lshlrev_b16_e32 v3, 8, v2
	v_lshlrev_b32_e32 v2, 25, v2
	v_lshrrev_b32_e32 v8, 4, v2
	v_and_or_b32 v9, v3, s16, 0.5
	v_or_b32_e32 v8, 0x70000000, v8
	v_add_f32_e32 v9, -0.5, v9
	v_mul_f32_e32 v8, 0x7800000, v8
	v_cmp_gt_u32_e32 vcc, s17, v2
	v_bfe_i32 v3, v3, 0, 16
	v_cndmask_b32_e32 v2, v8, v9, vcc
	s_brev_b32 s16, 1
	v_and_or_b32 v2, v3, s16, v2
	v_cvt_f64_f32_e32 v[2:3], v2
.LBB8_1370:
	s_mov_b64 s[16:17], 0
	s_mov_b64 s[18:19], -1
.LBB8_1371:
	s_andn2_b64 vcc, exec, s[16:17]
	s_mov_b64 s[16:17], 0
	s_cbranch_vccnz .LBB8_1382
; %bb.1372:
	v_cmp_lt_i16_e32 vcc, 14, v11
	s_cbranch_vccz .LBB8_1375
; %bb.1373:
	v_cmp_eq_u16_e32 vcc, 15, v11
	s_cbranch_vccz .LBB8_1378
; %bb.1374:
	global_load_ushort v2, v[6:7], off
	s_mov_b64 s[12:13], 0
	s_mov_b64 s[18:19], -1
	s_waitcnt vmcnt(0)
	v_lshlrev_b32_e32 v2, 16, v2
	v_cvt_f64_f32_e32 v[2:3], v2
	s_branch .LBB8_1379
.LBB8_1375:
	s_mov_b64 s[20:21], -1
                                        ; implicit-def: $vgpr2_vgpr3
	s_branch .LBB8_1380
.LBB8_1376:
	s_or_saveexec_b64 s[20:21], s[20:21]
	v_pk_mov_b32 v[2:3], s[18:19], s[18:19] op_sel:[0,1]
	s_xor_b64 exec, exec, s[20:21]
	s_cbranch_execz .LBB8_1357
.LBB8_1377:
	v_cmp_ne_u16_e32 vcc, 0, v8
	s_andn2_b64 s[16:17], s[16:17], exec
	s_and_b64 s[18:19], vcc, exec
	v_pk_mov_b32 v[2:3], 0, 0
	s_or_b64 s[16:17], s[16:17], s[18:19]
	s_or_b64 exec, exec, s[20:21]
	s_and_saveexec_b64 s[18:19], s[16:17]
	s_cbranch_execnz .LBB8_1358
	s_branch .LBB8_1359
.LBB8_1378:
	s_mov_b64 s[12:13], -1
                                        ; implicit-def: $vgpr2_vgpr3
.LBB8_1379:
	s_mov_b64 s[20:21], 0
.LBB8_1380:
	s_and_b64 vcc, exec, s[20:21]
	s_cbranch_vccz .LBB8_1382
; %bb.1381:
	v_cmp_ne_u16_e64 s[12:13], 11, v11
	s_mov_b64 s[16:17], -1
                                        ; implicit-def: $vgpr2_vgpr3
.LBB8_1382:
	s_and_b64 vcc, exec, s[12:13]
	s_cbranch_vccnz .LBB8_1449
; %bb.1383:
	s_andn2_b64 vcc, exec, s[16:17]
	s_cbranch_vccnz .LBB8_1385
.LBB8_1384:
	global_load_ubyte v3, v[6:7], off
	v_mov_b32_e32 v8, 0x3ff00000
	v_mov_b32_e32 v2, 0
	s_mov_b64 s[18:19], -1
	s_waitcnt vmcnt(0)
	v_cmp_ne_u16_e32 vcc, 0, v3
	v_cndmask_b32_e32 v3, 0, v8, vcc
.LBB8_1385:
	s_branch .LBB8_1313
.LBB8_1386:
	v_cmp_gt_i16_e32 vcc, 5, v11
	s_cbranch_vccnz .LBB8_1391
; %bb.1387:
	v_cmp_gt_i16_e32 vcc, 8, v11
	s_cbranch_vccnz .LBB8_1392
; %bb.1388:
	;; [unrolled: 3-line block ×3, first 2 shown]
	v_cmp_lt_i16_e32 vcc, 9, v11
	s_cbranch_vccz .LBB8_1394
; %bb.1390:
	global_load_dwordx2 v[2:3], v[6:7], off
	s_mov_b64 s[12:13], 0
	s_branch .LBB8_1395
.LBB8_1391:
	s_mov_b64 s[12:13], -1
                                        ; implicit-def: $vgpr2_vgpr3
	s_branch .LBB8_1413
.LBB8_1392:
	s_mov_b64 s[12:13], -1
                                        ; implicit-def: $vgpr2_vgpr3
	s_branch .LBB8_1401
.LBB8_1393:
	s_mov_b64 s[12:13], -1
                                        ; implicit-def: $vgpr2_vgpr3
	s_branch .LBB8_1398
.LBB8_1394:
	s_mov_b64 s[12:13], -1
                                        ; implicit-def: $vgpr2_vgpr3
.LBB8_1395:
	s_andn2_b64 vcc, exec, s[12:13]
	s_cbranch_vccnz .LBB8_1397
; %bb.1396:
	global_load_dword v2, v[6:7], off
	s_waitcnt vmcnt(0)
	v_cvt_f64_f32_e32 v[2:3], v2
.LBB8_1397:
	s_mov_b64 s[12:13], 0
.LBB8_1398:
	s_andn2_b64 vcc, exec, s[12:13]
	s_cbranch_vccnz .LBB8_1400
; %bb.1399:
	global_load_dword v2, v[6:7], off
	s_waitcnt vmcnt(0)
	v_cvt_f32_f16_e32 v2, v2
	v_cvt_f64_f32_e32 v[2:3], v2
.LBB8_1400:
	s_mov_b64 s[12:13], 0
.LBB8_1401:
	s_andn2_b64 vcc, exec, s[12:13]
	s_cbranch_vccnz .LBB8_1412
; %bb.1402:
	v_cmp_gt_i16_e32 vcc, 6, v11
	s_cbranch_vccnz .LBB8_1405
; %bb.1403:
	v_cmp_lt_i16_e32 vcc, 6, v11
	s_cbranch_vccz .LBB8_1406
; %bb.1404:
	global_load_dwordx2 v[2:3], v[6:7], off
	s_mov_b64 s[12:13], 0
	s_branch .LBB8_1407
.LBB8_1405:
	s_mov_b64 s[12:13], -1
                                        ; implicit-def: $vgpr2_vgpr3
	s_branch .LBB8_1410
.LBB8_1406:
	s_mov_b64 s[12:13], -1
                                        ; implicit-def: $vgpr2_vgpr3
.LBB8_1407:
	s_andn2_b64 vcc, exec, s[12:13]
	s_cbranch_vccnz .LBB8_1409
; %bb.1408:
	global_load_dword v2, v[6:7], off
	s_waitcnt vmcnt(0)
	v_cvt_f64_f32_e32 v[2:3], v2
.LBB8_1409:
	s_mov_b64 s[12:13], 0
.LBB8_1410:
	s_andn2_b64 vcc, exec, s[12:13]
	s_cbranch_vccnz .LBB8_1412
; %bb.1411:
	global_load_ushort v2, v[6:7], off
	s_waitcnt vmcnt(0)
	v_cvt_f32_f16_e32 v2, v2
	v_cvt_f64_f32_e32 v[2:3], v2
.LBB8_1412:
	s_mov_b64 s[12:13], 0
.LBB8_1413:
	s_andn2_b64 vcc, exec, s[12:13]
	s_cbranch_vccnz .LBB8_1433
; %bb.1414:
	v_cmp_gt_i16_e32 vcc, 2, v11
	s_cbranch_vccnz .LBB8_1418
; %bb.1415:
	v_cmp_gt_i16_e32 vcc, 3, v11
	s_cbranch_vccnz .LBB8_1419
; %bb.1416:
	v_cmp_lt_i16_e32 vcc, 3, v11
	s_cbranch_vccz .LBB8_1420
; %bb.1417:
	global_load_dwordx2 v[2:3], v[6:7], off
	s_mov_b64 s[12:13], 0
	s_waitcnt vmcnt(0)
	v_cvt_f64_i32_e32 v[8:9], v3
	v_cvt_f64_u32_e32 v[2:3], v2
	v_ldexp_f64 v[8:9], v[8:9], 32
	v_add_f64 v[2:3], v[8:9], v[2:3]
	s_branch .LBB8_1421
.LBB8_1418:
	s_mov_b64 s[12:13], -1
                                        ; implicit-def: $vgpr2_vgpr3
	s_branch .LBB8_1427
.LBB8_1419:
	s_mov_b64 s[12:13], -1
                                        ; implicit-def: $vgpr2_vgpr3
	s_branch .LBB8_1424
.LBB8_1420:
	s_mov_b64 s[12:13], -1
                                        ; implicit-def: $vgpr2_vgpr3
.LBB8_1421:
	s_andn2_b64 vcc, exec, s[12:13]
	s_cbranch_vccnz .LBB8_1423
; %bb.1422:
	global_load_dword v2, v[6:7], off
	s_waitcnt vmcnt(0)
	v_cvt_f64_i32_e32 v[2:3], v2
.LBB8_1423:
	s_mov_b64 s[12:13], 0
.LBB8_1424:
	s_andn2_b64 vcc, exec, s[12:13]
	s_cbranch_vccnz .LBB8_1426
; %bb.1425:
	global_load_sshort v2, v[6:7], off
	s_waitcnt vmcnt(0)
	v_cvt_f64_i32_e32 v[2:3], v2
.LBB8_1426:
	s_mov_b64 s[12:13], 0
.LBB8_1427:
	s_andn2_b64 vcc, exec, s[12:13]
	s_cbranch_vccnz .LBB8_1433
; %bb.1428:
	v_cmp_lt_i16_e32 vcc, 0, v11
	s_cbranch_vccz .LBB8_1430
; %bb.1429:
	global_load_sbyte v2, v[6:7], off
	s_mov_b64 s[12:13], 0
	s_waitcnt vmcnt(0)
	v_cvt_f64_i32_e32 v[2:3], v2
	s_branch .LBB8_1431
.LBB8_1430:
	s_mov_b64 s[12:13], -1
                                        ; implicit-def: $vgpr2_vgpr3
.LBB8_1431:
	s_andn2_b64 vcc, exec, s[12:13]
	s_cbranch_vccnz .LBB8_1433
; %bb.1432:
	global_load_ubyte v2, v[6:7], off
	s_waitcnt vmcnt(0)
	v_cvt_f64_u32_e32 v[2:3], v2
.LBB8_1433:
.LBB8_1434:
	s_mov_b32 s12, 0
	s_mov_b32 s13, 0x40200000
	s_waitcnt vmcnt(0)
	v_cmp_le_f64_e64 s[12:13], |v[2:3]|, s[12:13]
                                        ; implicit-def: $vgpr8_vgpr9
	s_and_saveexec_b64 s[16:17], s[12:13]
	s_xor_b64 s[12:13], exec, s[16:17]
	s_cbranch_execz .LBB8_1436
; %bb.1435:
	s_mov_b32 s16, 0x2134d0ef
	v_fma_f64 v[6:7], |v[2:3]|, 0.5, -2.0
	v_mov_b32_e32 v8, 0x977da589
	v_mov_b32_e32 v9, 0x3c833362
	s_mov_b32 s17, 0xbc545cb7
	v_fmac_f64_e32 v[8:9], s[16:17], v[6:7]
	v_mov_b32_e32 v16, 0x2134d0ef
	v_mov_b32_e32 v17, 0x3c545cb7
	s_mov_b32 s16, 0x721ebbb4
	v_fmac_f64_e32 v[16:17], v[6:7], v[8:9]
	s_mov_b32 s17, 0xbcb184eb
	v_add_f64 v[16:17], v[16:17], s[16:17]
	s_mov_b32 s16, 0x93f65eba
	v_fma_f64 v[8:9], v[6:7], v[16:17], -v[8:9]
	s_mov_b32 s17, 0x3cdee6d8
	v_add_f64 v[8:9], v[8:9], s[16:17]
	s_mov_b32 s16, 0xc297fbeb
	v_fma_f64 v[16:17], v[6:7], v[8:9], -v[16:17]
	;; [unrolled: 4-line block ×27, first 2 shown]
	s_mov_b32 s17, 0x3fe5a84e
	v_add_f64 v[6:7], v[6:7], s[16:17]
	s_mov_b32 s16, 0x652b82fe
	s_mov_b32 s17, 0x3ff71547
	v_mul_f64 v[16:17], |v[2:3]|, s[16:17]
	s_mov_b32 s16, 0xfefa39ef
	v_rndne_f64_e32 v[16:17], v[16:17]
	s_mov_b32 s17, 0xbfe62e42
	v_fma_f64 v[18:19], v[16:17], s[16:17], |v[2:3]|
	s_mov_b32 s16, 0x3b39803f
	s_mov_b32 s17, 0xbc7abc9e
	v_fmac_f64_e32 v[18:19], s[16:17], v[16:17]
	s_mov_b32 s16, 0x6a5dcb37
	v_mov_b32_e32 v20, 0xfca7ab0c
	v_mov_b32_e32 v21, 0x3e928af3
	s_mov_b32 s17, 0x3e5ade15
	v_fmac_f64_e32 v[20:21], s[16:17], v[18:19]
	v_mov_b32_e32 v22, 0x623fde64
	v_mov_b32_e32 v23, 0x3ec71dee
	v_fmac_f64_e32 v[22:23], v[18:19], v[20:21]
	v_mov_b32_e32 v20, 0x7c89e6b0
	v_mov_b32_e32 v21, 0x3efa0199
	v_fmac_f64_e32 v[20:21], v[18:19], v[22:23]
	v_mov_b32_e32 v22, 0x14761f6e
	v_mov_b32_e32 v23, 0x3f2a01a0
	v_fmac_f64_e32 v[22:23], v[18:19], v[20:21]
	v_mov_b32_e32 v20, 0x1852b7b0
	v_mov_b32_e32 v21, 0x3f56c16c
	v_fmac_f64_e32 v[20:21], v[18:19], v[22:23]
	v_mov_b32_e32 v22, 0x11122322
	v_mov_b32_e32 v23, 0x3f811111
	v_fmac_f64_e32 v[22:23], v[18:19], v[20:21]
	v_mov_b32_e32 v20, 0x555502a1
	v_mov_b32_e32 v21, 0x3fa55555
	v_fmac_f64_e32 v[20:21], v[18:19], v[22:23]
	v_mov_b32_e32 v22, 0x55555511
	v_mov_b32_e32 v23, 0x3fc55555
	v_fmac_f64_e32 v[22:23], v[18:19], v[20:21]
	v_mov_b32_e32 v20, 11
	v_mov_b32_e32 v21, 0x3fe00000
	v_fmac_f64_e32 v[20:21], v[18:19], v[22:23]
	v_fma_f64 v[20:21], v[18:19], v[20:21], 1.0
	s_mov_b32 s16, 0
	v_fma_f64 v[18:19], v[18:19], v[20:21], 1.0
	v_cvt_i32_f64_e32 v13, v[16:17]
	s_mov_b32 s17, 0x40900000
	v_ldexp_f64 v[16:17], v[18:19], v13
	v_mov_b32_e32 v13, 0x7ff00000
	v_cmp_ngt_f64_e64 vcc, |v[2:3]|, s[16:17]
	v_add_f64 v[6:7], v[6:7], -v[8:9]
	v_cndmask_b32_e32 v3, v13, v17, vcc
	v_cndmask_b32_e32 v2, 0, v16, vcc
	v_mul_f64 v[6:7], v[6:7], 0.5
	v_mul_f64 v[8:9], v[2:3], v[6:7]
                                        ; implicit-def: $vgpr2_vgpr3
.LBB8_1436:
	s_andn2_saveexec_b64 s[12:13], s[12:13]
	s_cbranch_execz .LBB8_1438
; %bb.1437:
	s_mov_b32 s16, 0
	v_and_b32_e32 v7, 0x7fffffff, v3
	v_mov_b32_e32 v6, v2
	s_mov_b32 s17, 0x40400000
	v_div_scale_f64 v[8:9], s[18:19], v[6:7], v[6:7], s[16:17]
	v_rcp_f64_e32 v[16:17], v[8:9]
	v_div_scale_f64 v[6:7], vcc, s[16:17], v[6:7], s[16:17]
	v_mov_b32_e32 v20, 0xfca7ab0c
	v_fma_f64 v[18:19], -v[8:9], v[16:17], 1.0
	v_fmac_f64_e32 v[16:17], v[16:17], v[18:19]
	v_fma_f64 v[18:19], -v[8:9], v[16:17], 1.0
	v_fmac_f64_e32 v[16:17], v[16:17], v[18:19]
	v_mul_f64 v[18:19], v[6:7], v[16:17]
	v_fma_f64 v[6:7], -v[8:9], v[18:19], v[6:7]
	v_div_fmas_f64 v[6:7], v[6:7], v[16:17], v[18:19]
	v_div_fixup_f64 v[6:7], v[6:7], |v[2:3]|, s[16:17]
	s_mov_b32 s16, 0x54ca8b19
	v_add_f64 v[6:7], v[6:7], -2.0
	v_mov_b32_e32 v8, 0x66119130
	v_mov_b32_e32 v9, 0xbc5646da
	s_mov_b32 s17, 0xbc60adb7
	v_fmac_f64_e32 v[8:9], s[16:17], v[6:7]
	v_mov_b32_e32 v16, 0x54ca8b19
	v_mov_b32_e32 v17, 0x3c60adb7
	s_mov_b32 s16, 0x12d98421
	v_fmac_f64_e32 v[16:17], v[6:7], v[8:9]
	s_mov_b32 s17, 0x3c89be18
	v_add_f64 v[16:17], v[16:17], s[16:17]
	s_mov_b32 s16, 0x76041cd
	v_fma_f64 v[8:9], v[6:7], v[16:17], -v[8:9]
	s_mov_b32 s17, 0x3c83f3dd
	v_add_f64 v[8:9], v[8:9], s[16:17]
	s_mov_b32 s16, 0xabd21fe4
	v_fma_f64 v[16:17], v[6:7], v[8:9], -v[16:17]
	;; [unrolled: 4-line block ×22, first 2 shown]
	s_mov_b32 s17, 0x3fe9be62
	v_add_f64 v[6:7], v[6:7], s[16:17]
	s_mov_b32 s16, 0x652b82fe
	s_mov_b32 s17, 0x3ff71547
	v_mul_f64 v[8:9], |v[2:3]|, s[16:17]
	s_mov_b32 s16, 0xfefa39ef
	v_rndne_f64_e32 v[8:9], v[8:9]
	s_mov_b32 s17, 0xbfe62e42
	v_fma_f64 v[18:19], v[8:9], s[16:17], |v[2:3]|
	s_mov_b32 s16, 0x3b39803f
	s_mov_b32 s17, 0xbc7abc9e
	v_fmac_f64_e32 v[18:19], s[16:17], v[8:9]
	s_mov_b32 s16, 0x6a5dcb37
	v_mov_b32_e32 v21, 0x3e928af3
	s_mov_b32 s17, 0x3e5ade15
	v_fmac_f64_e32 v[20:21], s[16:17], v[18:19]
	v_mov_b32_e32 v22, 0x623fde64
	v_mov_b32_e32 v23, 0x3ec71dee
	v_fmac_f64_e32 v[22:23], v[18:19], v[20:21]
	v_mov_b32_e32 v20, 0x7c89e6b0
	v_mov_b32_e32 v21, 0x3efa0199
	;; [unrolled: 3-line block ×8, first 2 shown]
	v_fmac_f64_e32 v[20:21], v[18:19], v[22:23]
	s_mov_b32 s16, 0
	v_fma_f64 v[20:21], v[18:19], v[20:21], 1.0
	s_mov_b32 s17, 0x40900000
	v_fma_f64 v[18:19], v[18:19], v[20:21], 1.0
	v_cvt_i32_f64_e32 v8, v[8:9]
	v_cmp_ngt_f64_e64 vcc, |v[2:3]|, s[16:17]
	s_mov_b32 s16, 0
	v_ldexp_f64 v[8:9], v[18:19], v8
	v_mov_b32_e32 v13, 0x7ff00000
	s_brev_b32 s17, 8
	v_cndmask_b32_e32 v9, v13, v9, vcc
	v_cndmask_b32_e32 v8, 0, v8, vcc
	v_cmp_lt_f64_e64 vcc, |v[2:3]|, s[16:17]
	v_cndmask_b32_e64 v13, 0, 1, vcc
	v_lshlrev_b32_e32 v13, 8, v13
	v_ldexp_f64 v[2:3], |v[2:3]|, v13
	v_rsq_f64_e32 v[18:19], v[2:3]
	v_add_f64 v[6:7], v[6:7], -v[16:17]
	v_mul_f64 v[6:7], v[6:7], 0.5
	v_mul_f64 v[6:7], v[8:9], v[6:7]
	v_mul_f64 v[8:9], v[2:3], v[18:19]
	v_mul_f64 v[16:17], v[18:19], 0.5
	v_fma_f64 v[18:19], -v[16:17], v[8:9], 0.5
	v_fmac_f64_e32 v[8:9], v[8:9], v[18:19]
	v_fma_f64 v[20:21], -v[8:9], v[8:9], v[2:3]
	v_fmac_f64_e32 v[16:17], v[16:17], v[18:19]
	v_fmac_f64_e32 v[8:9], v[20:21], v[16:17]
	v_fma_f64 v[18:19], -v[8:9], v[8:9], v[2:3]
	v_mov_b32_e32 v13, 0xffffff80
	v_fmac_f64_e32 v[8:9], v[18:19], v[16:17]
	v_cndmask_b32_e32 v13, 0, v13, vcc
	v_ldexp_f64 v[8:9], v[8:9], v13
	v_mov_b32_e32 v13, 0x260
	v_cmp_class_f64_e32 vcc, v[2:3], v13
	v_cndmask_b32_e32 v3, v9, v3, vcc
	v_cndmask_b32_e32 v2, v8, v2, vcc
	v_div_scale_f64 v[8:9], s[16:17], v[2:3], v[2:3], v[6:7]
	v_rcp_f64_e32 v[16:17], v[8:9]
	v_fma_f64 v[18:19], -v[8:9], v[16:17], 1.0
	v_fmac_f64_e32 v[16:17], v[16:17], v[18:19]
	v_fma_f64 v[18:19], -v[8:9], v[16:17], 1.0
	v_fmac_f64_e32 v[16:17], v[16:17], v[18:19]
	v_div_scale_f64 v[18:19], vcc, v[6:7], v[2:3], v[6:7]
	v_mul_f64 v[20:21], v[18:19], v[16:17]
	v_fma_f64 v[8:9], -v[8:9], v[20:21], v[18:19]
	s_nop 1
	v_div_fmas_f64 v[8:9], v[8:9], v[16:17], v[20:21]
	v_div_fixup_f64 v[8:9], v[8:9], v[2:3], v[6:7]
.LBB8_1438:
	s_or_b64 exec, exec, s[12:13]
	v_add_u32_e32 v2, s3, v12
	v_ashrrev_i32_e32 v3, 31, v2
	v_mov_b32_e32 v7, s11
	v_add_co_u32_e32 v6, vcc, s10, v2
	v_addc_co_u32_e32 v7, vcc, v7, v3, vcc
	s_and_b64 vcc, exec, s[0:1]
	s_cbranch_vccnz .LBB8_1445
; %bb.1439:
	v_cmp_lt_i16_e32 vcc, 25, v11
	s_mov_b64 s[10:11], 0
	s_cbranch_vccz .LBB8_1446
; %bb.1440:
	v_cmp_lt_i16_e32 vcc, 28, v11
	s_cbranch_vccz .LBB8_1447
; %bb.1441:
	v_cmp_lt_i16_e32 vcc, 43, v11
	;; [unrolled: 3-line block ×3, first 2 shown]
	s_cbranch_vccz .LBB8_1450
; %bb.1443:
	v_cmp_eq_u16_e32 vcc, 46, v11
	s_mov_b64 s[16:17], 0
	s_cbranch_vccz .LBB8_1451
; %bb.1444:
	global_load_dword v2, v[6:7], off
	s_mov_b64 s[0:1], 0
	s_mov_b64 s[12:13], -1
	s_waitcnt vmcnt(0)
	v_lshlrev_b32_e32 v2, 16, v2
	v_cvt_f64_f32_e32 v[2:3], v2
	s_branch .LBB8_1452
.LBB8_1445:
	s_mov_b64 s[0:1], -1
	s_mov_b64 s[12:13], 0
                                        ; implicit-def: $vgpr2_vgpr3
	s_branch .LBB8_1518
.LBB8_1446:
	s_mov_b64 s[16:17], -1
	s_mov_b64 s[12:13], 0
	s_mov_b64 s[0:1], 0
                                        ; implicit-def: $vgpr2_vgpr3
	s_branch .LBB8_1481
.LBB8_1447:
	s_mov_b64 s[16:17], -1
	s_mov_b64 s[12:13], 0
	s_mov_b64 s[0:1], 0
                                        ; implicit-def: $vgpr2_vgpr3
	s_branch .LBB8_1462
.LBB8_1448:
	s_mov_b64 s[16:17], -1
	s_mov_b64 s[12:13], 0
	s_mov_b64 s[0:1], 0
                                        ; implicit-def: $vgpr2_vgpr3
	s_branch .LBB8_1457
.LBB8_1449:
	s_trap 2
	s_or_b64 s[14:15], s[14:15], exec
                                        ; implicit-def: $vgpr2_vgpr3
	s_cbranch_execz .LBB8_1384
	s_branch .LBB8_1385
.LBB8_1450:
	s_mov_b64 s[16:17], -1
	s_mov_b64 s[12:13], 0
	s_mov_b64 s[0:1], 0
                                        ; implicit-def: $vgpr2_vgpr3
	s_branch .LBB8_1452
.LBB8_1451:
	s_mov_b64 s[0:1], -1
                                        ; implicit-def: $vgpr2_vgpr3
	s_mov_b64 s[12:13], 0
.LBB8_1452:
	s_and_b64 vcc, exec, s[16:17]
	s_cbranch_vccz .LBB8_1456
; %bb.1453:
	v_cmp_eq_u16_e32 vcc, 44, v11
	s_cbranch_vccz .LBB8_1455
; %bb.1454:
	global_load_ubyte v12, v[6:7], off
	s_movk_i32 s3, 0xff
	v_bfrev_b32_e32 v13, 4
	v_mov_b32_e32 v15, 0x7ff80000
	v_bfrev_b32_e32 v16, 28
	s_mov_b64 s[0:1], 0
	s_mov_b64 s[12:13], -1
	s_waitcnt vmcnt(0)
	v_lshlrev_b32_e32 v2, 23, v12
	v_cvt_f64_f32_e32 v[2:3], v2
	v_cmp_ne_u32_e32 vcc, s3, v12
	v_cndmask_b32_e32 v2, v13, v2, vcc
	v_cndmask_b32_e32 v3, v15, v3, vcc
	v_cmp_ne_u32_e32 vcc, 0, v12
	v_cndmask_b32_e32 v3, v16, v3, vcc
	v_cndmask_b32_e32 v2, 0, v2, vcc
	s_branch .LBB8_1456
.LBB8_1455:
	s_mov_b64 s[0:1], -1
                                        ; implicit-def: $vgpr2_vgpr3
.LBB8_1456:
	s_mov_b64 s[16:17], 0
.LBB8_1457:
	s_and_b64 vcc, exec, s[16:17]
	s_cbranch_vccz .LBB8_1461
; %bb.1458:
	v_cmp_eq_u16_e32 vcc, 29, v11
	s_cbranch_vccz .LBB8_1460
; %bb.1459:
	global_load_dwordx2 v[2:3], v[6:7], off
	s_mov_b64 s[0:1], 0
	s_mov_b64 s[12:13], -1
	s_mov_b64 s[16:17], 0
	s_waitcnt vmcnt(0)
	v_cvt_f64_u32_e32 v[12:13], v3
	v_cvt_f64_u32_e32 v[2:3], v2
	v_ldexp_f64 v[12:13], v[12:13], 32
	v_add_f64 v[2:3], v[12:13], v[2:3]
	s_branch .LBB8_1462
.LBB8_1460:
	s_mov_b64 s[0:1], -1
                                        ; implicit-def: $vgpr2_vgpr3
.LBB8_1461:
	s_mov_b64 s[16:17], 0
.LBB8_1462:
	s_and_b64 vcc, exec, s[16:17]
	s_cbranch_vccz .LBB8_1480
; %bb.1463:
	v_cmp_gt_i16_e32 vcc, 27, v11
	s_cbranch_vccnz .LBB8_1466
; %bb.1464:
	v_cmp_lt_i16_e32 vcc, 27, v11
	s_cbranch_vccz .LBB8_1467
; %bb.1465:
	global_load_dword v2, v[6:7], off
	s_mov_b64 s[12:13], 0
	s_waitcnt vmcnt(0)
	v_cvt_f64_u32_e32 v[2:3], v2
	s_branch .LBB8_1468
.LBB8_1466:
	s_mov_b64 s[12:13], -1
                                        ; implicit-def: $vgpr2_vgpr3
	s_branch .LBB8_1471
.LBB8_1467:
	s_mov_b64 s[12:13], -1
                                        ; implicit-def: $vgpr2_vgpr3
.LBB8_1468:
	s_andn2_b64 vcc, exec, s[12:13]
	s_cbranch_vccnz .LBB8_1470
; %bb.1469:
	global_load_ushort v2, v[6:7], off
	s_waitcnt vmcnt(0)
	v_cvt_f64_u32_e32 v[2:3], v2
.LBB8_1470:
	s_mov_b64 s[12:13], 0
.LBB8_1471:
	s_andn2_b64 vcc, exec, s[12:13]
	s_cbranch_vccnz .LBB8_1479
; %bb.1472:
	global_load_ubyte v12, v[6:7], off
	s_movk_i32 s3, 0x7f
	s_mov_b64 s[12:13], 0
                                        ; implicit-def: $sgpr16_sgpr17
	s_waitcnt vmcnt(0)
	v_cmp_lt_i16_e32 vcc, s3, v12
	s_and_saveexec_b64 s[18:19], vcc
	s_xor_b64 s[18:19], exec, s[18:19]
	s_cbranch_execz .LBB8_1493
; %bb.1473:
	s_movk_i32 s3, 0x80
	v_cmp_eq_u16_e32 vcc, s3, v12
	s_mov_b64 s[20:21], -1
                                        ; implicit-def: $sgpr16_sgpr17
	s_and_saveexec_b64 s[12:13], vcc
; %bb.1474:
	s_mov_b32 s17, 0x7ff80000
	s_brev_b32 s16, 4
	s_xor_b64 s[20:21], exec, -1
; %bb.1475:
	s_or_b64 exec, exec, s[12:13]
	s_and_b64 s[12:13], s[20:21], exec
	s_or_saveexec_b64 s[18:19], s[18:19]
	v_pk_mov_b32 v[2:3], s[16:17], s[16:17] op_sel:[0,1]
	s_xor_b64 exec, exec, s[18:19]
	s_cbranch_execnz .LBB8_1494
.LBB8_1476:
	s_or_b64 exec, exec, s[18:19]
	s_and_saveexec_b64 s[16:17], s[12:13]
	s_cbranch_execz .LBB8_1478
.LBB8_1477:
	v_and_b32_e32 v3, 0xffff, v12
	v_lshlrev_b32_e32 v2, 24, v12
	v_and_b32_e32 v12, 7, v3
	v_ffbh_u32_e32 v15, v12
	v_min_u32_e32 v15, 32, v15
	v_subrev_u32_e32 v16, 28, v15
	v_bfe_u32 v13, v3, 3, 4
	v_lshlrev_b32_e32 v3, v16, v3
	v_sub_u32_e32 v15, 29, v15
	v_and_b32_e32 v3, 7, v3
	v_cmp_eq_u32_e32 vcc, 0, v13
	v_cndmask_b32_e32 v13, v13, v15, vcc
	v_cndmask_b32_e32 v3, v12, v3, vcc
	v_mov_b32_e32 v12, 0x3b800000
	v_lshlrev_b32_e32 v3, 20, v3
	v_and_b32_e32 v2, 0x80000000, v2
	v_lshl_add_u32 v12, v13, 23, v12
	v_or3_b32 v2, v2, v12, v3
	v_cvt_f64_f32_e32 v[2:3], v2
.LBB8_1478:
	s_or_b64 exec, exec, s[16:17]
.LBB8_1479:
	s_mov_b64 s[12:13], -1
.LBB8_1480:
	s_mov_b64 s[16:17], 0
.LBB8_1481:
	s_and_b64 vcc, exec, s[16:17]
	s_cbranch_vccz .LBB8_1514
; %bb.1482:
	v_cmp_lt_i16_e32 vcc, 22, v11
	s_cbranch_vccz .LBB8_1492
; %bb.1483:
	v_cmp_gt_i16_e32 vcc, 24, v11
	s_cbranch_vccnz .LBB8_1495
; %bb.1484:
	v_cmp_lt_i16_e32 vcc, 24, v11
	s_cbranch_vccz .LBB8_1496
; %bb.1485:
	global_load_ubyte v12, v[6:7], off
	s_movk_i32 s3, 0x7f
                                        ; implicit-def: $sgpr12_sgpr13
	s_waitcnt vmcnt(0)
	v_cmp_lt_i16_e32 vcc, s3, v12
	s_and_saveexec_b64 s[16:17], vcc
	s_xor_b64 s[16:17], exec, s[16:17]
	s_cbranch_execz .LBB8_1508
; %bb.1486:
	s_movk_i32 s3, 0x80
	v_cmp_eq_u16_e32 vcc, s3, v12
	s_mov_b64 s[18:19], -1
                                        ; implicit-def: $sgpr12_sgpr13
	s_and_saveexec_b64 s[10:11], vcc
; %bb.1487:
	s_mov_b32 s13, 0x7ff80000
	s_brev_b32 s12, 4
	s_xor_b64 s[18:19], exec, -1
; %bb.1488:
	s_or_b64 exec, exec, s[10:11]
	s_and_b64 s[10:11], s[18:19], exec
	s_or_saveexec_b64 s[16:17], s[16:17]
	v_pk_mov_b32 v[2:3], s[12:13], s[12:13] op_sel:[0,1]
	s_xor_b64 exec, exec, s[16:17]
	s_cbranch_execnz .LBB8_1509
.LBB8_1489:
	s_or_b64 exec, exec, s[16:17]
	s_and_saveexec_b64 s[12:13], s[10:11]
	s_cbranch_execz .LBB8_1491
.LBB8_1490:
	v_and_b32_e32 v3, 0xffff, v12
	v_lshlrev_b32_e32 v2, 24, v12
	v_and_b32_e32 v12, 3, v3
	v_ffbh_u32_e32 v15, v12
	v_min_u32_e32 v15, 32, v15
	v_subrev_u32_e32 v16, 29, v15
	v_bfe_u32 v13, v3, 2, 5
	v_lshlrev_b32_e32 v3, v16, v3
	v_sub_u32_e32 v15, 30, v15
	v_and_b32_e32 v3, 3, v3
	v_cmp_eq_u32_e32 vcc, 0, v13
	v_cndmask_b32_e32 v13, v13, v15, vcc
	v_cndmask_b32_e32 v3, v12, v3, vcc
	v_mov_b32_e32 v12, 0x37800000
	v_lshlrev_b32_e32 v3, 21, v3
	v_and_b32_e32 v2, 0x80000000, v2
	v_lshl_add_u32 v12, v13, 23, v12
	v_or3_b32 v2, v2, v12, v3
	v_cvt_f64_f32_e32 v[2:3], v2
.LBB8_1491:
	s_or_b64 exec, exec, s[12:13]
	s_mov_b64 s[10:11], 0
	s_branch .LBB8_1497
.LBB8_1492:
	s_mov_b64 s[10:11], -1
                                        ; implicit-def: $vgpr2_vgpr3
	s_branch .LBB8_1503
.LBB8_1493:
	s_or_saveexec_b64 s[18:19], s[18:19]
	v_pk_mov_b32 v[2:3], s[16:17], s[16:17] op_sel:[0,1]
	s_xor_b64 exec, exec, s[18:19]
	s_cbranch_execz .LBB8_1476
.LBB8_1494:
	v_cmp_ne_u16_e32 vcc, 0, v12
	s_andn2_b64 s[12:13], s[12:13], exec
	s_and_b64 s[16:17], vcc, exec
	v_pk_mov_b32 v[2:3], 0, 0
	s_or_b64 s[12:13], s[12:13], s[16:17]
	s_or_b64 exec, exec, s[18:19]
	s_and_saveexec_b64 s[16:17], s[12:13]
	s_cbranch_execnz .LBB8_1477
	s_branch .LBB8_1478
.LBB8_1495:
	s_mov_b64 s[10:11], -1
                                        ; implicit-def: $vgpr2_vgpr3
	s_branch .LBB8_1500
.LBB8_1496:
	s_mov_b64 s[10:11], -1
                                        ; implicit-def: $vgpr2_vgpr3
.LBB8_1497:
	s_and_b64 vcc, exec, s[10:11]
	s_cbranch_vccz .LBB8_1499
; %bb.1498:
	global_load_ubyte v2, v[6:7], off
	s_mov_b32 s3, 0x7f800000
	s_waitcnt vmcnt(0)
	v_lshlrev_b32_e32 v2, 24, v2
	v_and_b32_e32 v3, 0x7f000000, v2
	v_ffbh_u32_e32 v12, v3
	v_min_u32_e32 v12, 32, v12
	v_sub_u32_e64 v12, v12, 4 clamp
	v_lshlrev_b32_e32 v15, v12, v3
	v_lshlrev_b32_e32 v12, 23, v12
	v_lshrrev_b32_e32 v15, 4, v15
	v_add_u32_e32 v13, 0x1000000, v3
	v_sub_u32_e32 v12, v15, v12
	v_ashrrev_i32_e32 v13, 8, v13
	v_add_u32_e32 v12, 0x3c000000, v12
	v_and_or_b32 v12, v13, s3, v12
	v_cmp_ne_u32_e32 vcc, 0, v3
	v_cndmask_b32_e32 v3, 0, v12, vcc
	s_brev_b32 s3, 1
	v_and_or_b32 v2, v2, s3, v3
	v_cvt_f64_f32_e32 v[2:3], v2
.LBB8_1499:
	s_mov_b64 s[10:11], 0
.LBB8_1500:
	s_andn2_b64 vcc, exec, s[10:11]
	s_cbranch_vccnz .LBB8_1502
; %bb.1501:
	global_load_ubyte v2, v[6:7], off
	s_movk_i32 s3, 0x7f00
	s_brev_b32 s10, 16
	s_waitcnt vmcnt(0)
	v_lshlrev_b16_e32 v3, 8, v2
	v_lshlrev_b32_e32 v2, 25, v2
	v_lshrrev_b32_e32 v12, 4, v2
	v_and_or_b32 v13, v3, s3, 0.5
	v_or_b32_e32 v12, 0x70000000, v12
	v_add_f32_e32 v13, -0.5, v13
	v_mul_f32_e32 v12, 0x7800000, v12
	v_cmp_gt_u32_e32 vcc, s10, v2
	v_bfe_i32 v3, v3, 0, 16
	v_cndmask_b32_e32 v2, v12, v13, vcc
	s_brev_b32 s3, 1
	v_and_or_b32 v2, v3, s3, v2
	v_cvt_f64_f32_e32 v[2:3], v2
.LBB8_1502:
	s_mov_b64 s[10:11], 0
	s_mov_b64 s[12:13], -1
.LBB8_1503:
	s_andn2_b64 vcc, exec, s[10:11]
	s_mov_b64 s[10:11], 0
	s_cbranch_vccnz .LBB8_1514
; %bb.1504:
	v_cmp_lt_i16_e32 vcc, 14, v11
	s_cbranch_vccz .LBB8_1507
; %bb.1505:
	v_cmp_eq_u16_e32 vcc, 15, v11
	s_cbranch_vccz .LBB8_1510
; %bb.1506:
	global_load_ushort v2, v[6:7], off
	s_mov_b64 s[0:1], 0
	s_mov_b64 s[12:13], -1
	s_waitcnt vmcnt(0)
	v_lshlrev_b32_e32 v2, 16, v2
	v_cvt_f64_f32_e32 v[2:3], v2
	s_branch .LBB8_1511
.LBB8_1507:
	s_mov_b64 s[16:17], -1
                                        ; implicit-def: $vgpr2_vgpr3
	s_branch .LBB8_1512
.LBB8_1508:
	s_or_saveexec_b64 s[16:17], s[16:17]
	v_pk_mov_b32 v[2:3], s[12:13], s[12:13] op_sel:[0,1]
	s_xor_b64 exec, exec, s[16:17]
	s_cbranch_execz .LBB8_1489
.LBB8_1509:
	v_cmp_ne_u16_e32 vcc, 0, v12
	s_andn2_b64 s[10:11], s[10:11], exec
	s_and_b64 s[12:13], vcc, exec
	v_pk_mov_b32 v[2:3], 0, 0
	s_or_b64 s[10:11], s[10:11], s[12:13]
	s_or_b64 exec, exec, s[16:17]
	s_and_saveexec_b64 s[12:13], s[10:11]
	s_cbranch_execnz .LBB8_1490
	s_branch .LBB8_1491
.LBB8_1510:
	s_mov_b64 s[0:1], -1
                                        ; implicit-def: $vgpr2_vgpr3
.LBB8_1511:
	s_mov_b64 s[16:17], 0
.LBB8_1512:
	s_and_b64 vcc, exec, s[16:17]
	s_cbranch_vccz .LBB8_1514
; %bb.1513:
	v_cmp_ne_u16_e64 s[0:1], 11, v11
	s_mov_b64 s[10:11], -1
                                        ; implicit-def: $vgpr2_vgpr3
.LBB8_1514:
	s_and_b64 vcc, exec, s[0:1]
	s_cbranch_vccnz .LBB8_1628
; %bb.1515:
	s_andn2_b64 vcc, exec, s[10:11]
	s_cbranch_vccnz .LBB8_1517
.LBB8_1516:
	global_load_ubyte v3, v[6:7], off
	v_mov_b32_e32 v12, 0x3ff00000
	v_mov_b32_e32 v2, 0
	s_mov_b64 s[12:13], -1
	s_waitcnt vmcnt(0)
	v_cmp_ne_u16_e32 vcc, 0, v3
	v_cndmask_b32_e32 v3, 0, v12, vcc
.LBB8_1517:
	s_mov_b64 s[0:1], 0
.LBB8_1518:
	s_and_b64 vcc, exec, s[0:1]
	s_cbranch_vccz .LBB8_1567
; %bb.1519:
	v_cmp_gt_i16_e32 vcc, 5, v11
	s_cbranch_vccnz .LBB8_1524
; %bb.1520:
	v_cmp_gt_i16_e32 vcc, 8, v11
	s_cbranch_vccnz .LBB8_1525
	;; [unrolled: 3-line block ×3, first 2 shown]
; %bb.1522:
	v_cmp_lt_i16_e32 vcc, 9, v11
	s_cbranch_vccz .LBB8_1527
; %bb.1523:
	global_load_dwordx2 v[2:3], v[6:7], off
	s_mov_b64 s[0:1], 0
	s_branch .LBB8_1528
.LBB8_1524:
	s_mov_b64 s[0:1], -1
                                        ; implicit-def: $vgpr2_vgpr3
	s_branch .LBB8_1546
.LBB8_1525:
	s_mov_b64 s[0:1], -1
                                        ; implicit-def: $vgpr2_vgpr3
	s_branch .LBB8_1534
.LBB8_1526:
	s_mov_b64 s[0:1], -1
                                        ; implicit-def: $vgpr2_vgpr3
	s_branch .LBB8_1531
.LBB8_1527:
	s_mov_b64 s[0:1], -1
                                        ; implicit-def: $vgpr2_vgpr3
.LBB8_1528:
	s_andn2_b64 vcc, exec, s[0:1]
	s_cbranch_vccnz .LBB8_1530
; %bb.1529:
	global_load_dword v2, v[6:7], off
	s_waitcnt vmcnt(0)
	v_cvt_f64_f32_e32 v[2:3], v2
.LBB8_1530:
	s_mov_b64 s[0:1], 0
.LBB8_1531:
	s_andn2_b64 vcc, exec, s[0:1]
	s_cbranch_vccnz .LBB8_1533
; %bb.1532:
	global_load_dword v2, v[6:7], off
	s_waitcnt vmcnt(0)
	v_cvt_f32_f16_e32 v2, v2
	v_cvt_f64_f32_e32 v[2:3], v2
.LBB8_1533:
	s_mov_b64 s[0:1], 0
.LBB8_1534:
	s_andn2_b64 vcc, exec, s[0:1]
	s_cbranch_vccnz .LBB8_1545
; %bb.1535:
	v_cmp_gt_i16_e32 vcc, 6, v11
	s_cbranch_vccnz .LBB8_1538
; %bb.1536:
	v_cmp_lt_i16_e32 vcc, 6, v11
	s_cbranch_vccz .LBB8_1539
; %bb.1537:
	global_load_dwordx2 v[2:3], v[6:7], off
	s_mov_b64 s[0:1], 0
	s_branch .LBB8_1540
.LBB8_1538:
	s_mov_b64 s[0:1], -1
                                        ; implicit-def: $vgpr2_vgpr3
	s_branch .LBB8_1543
.LBB8_1539:
	s_mov_b64 s[0:1], -1
                                        ; implicit-def: $vgpr2_vgpr3
.LBB8_1540:
	s_andn2_b64 vcc, exec, s[0:1]
	s_cbranch_vccnz .LBB8_1542
; %bb.1541:
	global_load_dword v2, v[6:7], off
	s_waitcnt vmcnt(0)
	v_cvt_f64_f32_e32 v[2:3], v2
.LBB8_1542:
	s_mov_b64 s[0:1], 0
.LBB8_1543:
	s_andn2_b64 vcc, exec, s[0:1]
	s_cbranch_vccnz .LBB8_1545
; %bb.1544:
	global_load_ushort v2, v[6:7], off
	s_waitcnt vmcnt(0)
	v_cvt_f32_f16_e32 v2, v2
	v_cvt_f64_f32_e32 v[2:3], v2
.LBB8_1545:
	s_mov_b64 s[0:1], 0
.LBB8_1546:
	s_andn2_b64 vcc, exec, s[0:1]
	s_cbranch_vccnz .LBB8_1566
; %bb.1547:
	v_cmp_gt_i16_e32 vcc, 2, v11
	s_cbranch_vccnz .LBB8_1551
; %bb.1548:
	v_cmp_gt_i16_e32 vcc, 3, v11
	s_cbranch_vccnz .LBB8_1552
; %bb.1549:
	v_cmp_lt_i16_e32 vcc, 3, v11
	s_cbranch_vccz .LBB8_1553
; %bb.1550:
	global_load_dwordx2 v[2:3], v[6:7], off
	s_mov_b64 s[0:1], 0
	s_waitcnt vmcnt(0)
	v_cvt_f64_i32_e32 v[12:13], v3
	v_cvt_f64_u32_e32 v[2:3], v2
	v_ldexp_f64 v[12:13], v[12:13], 32
	v_add_f64 v[2:3], v[12:13], v[2:3]
	s_branch .LBB8_1554
.LBB8_1551:
	s_mov_b64 s[0:1], -1
                                        ; implicit-def: $vgpr2_vgpr3
	s_branch .LBB8_1560
.LBB8_1552:
	s_mov_b64 s[0:1], -1
                                        ; implicit-def: $vgpr2_vgpr3
	s_branch .LBB8_1557
.LBB8_1553:
	s_mov_b64 s[0:1], -1
                                        ; implicit-def: $vgpr2_vgpr3
.LBB8_1554:
	s_andn2_b64 vcc, exec, s[0:1]
	s_cbranch_vccnz .LBB8_1556
; %bb.1555:
	global_load_dword v2, v[6:7], off
	s_waitcnt vmcnt(0)
	v_cvt_f64_i32_e32 v[2:3], v2
.LBB8_1556:
	s_mov_b64 s[0:1], 0
.LBB8_1557:
	s_andn2_b64 vcc, exec, s[0:1]
	s_cbranch_vccnz .LBB8_1559
; %bb.1558:
	global_load_sshort v2, v[6:7], off
	s_waitcnt vmcnt(0)
	v_cvt_f64_i32_e32 v[2:3], v2
.LBB8_1559:
	s_mov_b64 s[0:1], 0
.LBB8_1560:
	s_andn2_b64 vcc, exec, s[0:1]
	s_cbranch_vccnz .LBB8_1566
; %bb.1561:
	v_cmp_lt_i16_e32 vcc, 0, v11
	s_cbranch_vccz .LBB8_1563
; %bb.1562:
	global_load_sbyte v2, v[6:7], off
	s_mov_b64 s[0:1], 0
	s_waitcnt vmcnt(0)
	v_cvt_f64_i32_e32 v[2:3], v2
	s_branch .LBB8_1564
.LBB8_1563:
	s_mov_b64 s[0:1], -1
                                        ; implicit-def: $vgpr2_vgpr3
.LBB8_1564:
	s_andn2_b64 vcc, exec, s[0:1]
	s_cbranch_vccnz .LBB8_1566
; %bb.1565:
	global_load_ubyte v2, v[6:7], off
	s_waitcnt vmcnt(0)
	v_cvt_f64_u32_e32 v[2:3], v2
.LBB8_1566:
	s_mov_b64 s[12:13], -1
.LBB8_1567:
	s_andn2_b64 vcc, exec, s[12:13]
	s_cbranch_vccnz .LBB8_1579
; %bb.1568:
	s_mov_b32 s0, 0
	s_mov_b32 s1, 0x40200000
	s_waitcnt vmcnt(0)
	v_cmp_le_f64_e64 s[0:1], |v[2:3]|, s[0:1]
                                        ; implicit-def: $vgpr12_vgpr13
	s_and_saveexec_b64 s[10:11], s[0:1]
	s_xor_b64 s[0:1], exec, s[10:11]
	s_cbranch_execz .LBB8_1570
; %bb.1569:
	s_mov_b32 s10, 0x2134d0ef
	v_fma_f64 v[6:7], |v[2:3]|, 0.5, -2.0
	v_mov_b32_e32 v12, 0x977da589
	v_mov_b32_e32 v13, 0x3c833362
	s_mov_b32 s11, 0xbc545cb7
	v_fmac_f64_e32 v[12:13], s[10:11], v[6:7]
	v_mov_b32_e32 v16, 0x2134d0ef
	v_mov_b32_e32 v17, 0x3c545cb7
	s_mov_b32 s10, 0x721ebbb4
	v_fmac_f64_e32 v[16:17], v[6:7], v[12:13]
	s_mov_b32 s11, 0xbcb184eb
	v_add_f64 v[16:17], v[16:17], s[10:11]
	s_mov_b32 s10, 0x93f65eba
	v_fma_f64 v[12:13], v[6:7], v[16:17], -v[12:13]
	s_mov_b32 s11, 0x3cdee6d8
	v_add_f64 v[12:13], v[12:13], s[10:11]
	s_mov_b32 s10, 0xc297fbeb
	v_fma_f64 v[16:17], v[6:7], v[12:13], -v[16:17]
	;; [unrolled: 4-line block ×27, first 2 shown]
	s_mov_b32 s11, 0x3fe5a84e
	v_add_f64 v[6:7], v[6:7], s[10:11]
	s_mov_b32 s10, 0x652b82fe
	s_mov_b32 s11, 0x3ff71547
	v_mul_f64 v[16:17], |v[2:3]|, s[10:11]
	s_mov_b32 s10, 0xfefa39ef
	v_rndne_f64_e32 v[16:17], v[16:17]
	s_mov_b32 s11, 0xbfe62e42
	v_fma_f64 v[18:19], v[16:17], s[10:11], |v[2:3]|
	s_mov_b32 s10, 0x3b39803f
	s_mov_b32 s11, 0xbc7abc9e
	v_fmac_f64_e32 v[18:19], s[10:11], v[16:17]
	s_mov_b32 s10, 0x6a5dcb37
	v_mov_b32_e32 v20, 0xfca7ab0c
	v_mov_b32_e32 v21, 0x3e928af3
	s_mov_b32 s11, 0x3e5ade15
	v_fmac_f64_e32 v[20:21], s[10:11], v[18:19]
	v_mov_b32_e32 v22, 0x623fde64
	v_mov_b32_e32 v23, 0x3ec71dee
	v_fmac_f64_e32 v[22:23], v[18:19], v[20:21]
	v_mov_b32_e32 v20, 0x7c89e6b0
	v_mov_b32_e32 v21, 0x3efa0199
	;; [unrolled: 3-line block ×8, first 2 shown]
	v_fmac_f64_e32 v[20:21], v[18:19], v[22:23]
	v_fma_f64 v[20:21], v[18:19], v[20:21], 1.0
	s_mov_b32 s10, 0
	v_fma_f64 v[18:19], v[18:19], v[20:21], 1.0
	v_cvt_i32_f64_e32 v11, v[16:17]
	s_mov_b32 s11, 0x40900000
	v_ldexp_f64 v[16:17], v[18:19], v11
	v_mov_b32_e32 v11, 0x7ff00000
	v_cmp_ngt_f64_e64 vcc, |v[2:3]|, s[10:11]
	v_add_f64 v[6:7], v[6:7], -v[12:13]
	v_cndmask_b32_e32 v3, v11, v17, vcc
	v_cndmask_b32_e32 v2, 0, v16, vcc
	v_mul_f64 v[6:7], v[6:7], 0.5
	v_mul_f64 v[12:13], v[2:3], v[6:7]
                                        ; implicit-def: $vgpr2_vgpr3
.LBB8_1570:
	s_andn2_saveexec_b64 s[0:1], s[0:1]
	s_cbranch_execz .LBB8_1572
; %bb.1571:
	s_mov_b32 s10, 0
	v_and_b32_e32 v7, 0x7fffffff, v3
	v_mov_b32_e32 v6, v2
	s_mov_b32 s11, 0x40400000
	v_div_scale_f64 v[12:13], s[12:13], v[6:7], v[6:7], s[10:11]
	v_rcp_f64_e32 v[16:17], v[12:13]
	v_div_scale_f64 v[6:7], vcc, s[10:11], v[6:7], s[10:11]
	v_mov_b32_e32 v20, 0xfca7ab0c
	v_fma_f64 v[18:19], -v[12:13], v[16:17], 1.0
	v_fmac_f64_e32 v[16:17], v[16:17], v[18:19]
	v_fma_f64 v[18:19], -v[12:13], v[16:17], 1.0
	v_fmac_f64_e32 v[16:17], v[16:17], v[18:19]
	v_mul_f64 v[18:19], v[6:7], v[16:17]
	v_fma_f64 v[6:7], -v[12:13], v[18:19], v[6:7]
	v_div_fmas_f64 v[6:7], v[6:7], v[16:17], v[18:19]
	v_div_fixup_f64 v[6:7], v[6:7], |v[2:3]|, s[10:11]
	s_mov_b32 s10, 0x54ca8b19
	v_add_f64 v[6:7], v[6:7], -2.0
	v_mov_b32_e32 v12, 0x66119130
	v_mov_b32_e32 v13, 0xbc5646da
	s_mov_b32 s11, 0xbc60adb7
	v_fmac_f64_e32 v[12:13], s[10:11], v[6:7]
	v_mov_b32_e32 v16, 0x54ca8b19
	v_mov_b32_e32 v17, 0x3c60adb7
	s_mov_b32 s10, 0x12d98421
	v_fmac_f64_e32 v[16:17], v[6:7], v[12:13]
	s_mov_b32 s11, 0x3c89be18
	v_add_f64 v[16:17], v[16:17], s[10:11]
	s_mov_b32 s10, 0x76041cd
	v_fma_f64 v[12:13], v[6:7], v[16:17], -v[12:13]
	s_mov_b32 s11, 0x3c83f3dd
	v_add_f64 v[12:13], v[12:13], s[10:11]
	s_mov_b32 s10, 0xabd21fe4
	v_fma_f64 v[16:17], v[6:7], v[12:13], -v[16:17]
	;; [unrolled: 4-line block ×22, first 2 shown]
	s_mov_b32 s11, 0x3fe9be62
	v_add_f64 v[6:7], v[6:7], s[10:11]
	s_mov_b32 s10, 0x652b82fe
	s_mov_b32 s11, 0x3ff71547
	v_mul_f64 v[12:13], |v[2:3]|, s[10:11]
	s_mov_b32 s10, 0xfefa39ef
	v_rndne_f64_e32 v[12:13], v[12:13]
	s_mov_b32 s11, 0xbfe62e42
	v_fma_f64 v[18:19], v[12:13], s[10:11], |v[2:3]|
	s_mov_b32 s10, 0x3b39803f
	s_mov_b32 s11, 0xbc7abc9e
	v_fmac_f64_e32 v[18:19], s[10:11], v[12:13]
	s_mov_b32 s10, 0x6a5dcb37
	v_mov_b32_e32 v21, 0x3e928af3
	s_mov_b32 s11, 0x3e5ade15
	v_fmac_f64_e32 v[20:21], s[10:11], v[18:19]
	v_mov_b32_e32 v22, 0x623fde64
	v_mov_b32_e32 v23, 0x3ec71dee
	v_fmac_f64_e32 v[22:23], v[18:19], v[20:21]
	v_mov_b32_e32 v20, 0x7c89e6b0
	v_mov_b32_e32 v21, 0x3efa0199
	;; [unrolled: 3-line block ×8, first 2 shown]
	v_fmac_f64_e32 v[20:21], v[18:19], v[22:23]
	s_mov_b32 s10, 0
	v_fma_f64 v[20:21], v[18:19], v[20:21], 1.0
	s_mov_b32 s11, 0x40900000
	v_fma_f64 v[18:19], v[18:19], v[20:21], 1.0
	v_cvt_i32_f64_e32 v11, v[12:13]
	v_cmp_ngt_f64_e64 vcc, |v[2:3]|, s[10:11]
	s_mov_b32 s10, 0
	v_ldexp_f64 v[12:13], v[18:19], v11
	v_mov_b32_e32 v11, 0x7ff00000
	s_brev_b32 s11, 8
	v_cndmask_b32_e32 v13, v11, v13, vcc
	v_cndmask_b32_e32 v12, 0, v12, vcc
	v_cmp_lt_f64_e64 vcc, |v[2:3]|, s[10:11]
	v_cndmask_b32_e64 v11, 0, 1, vcc
	v_lshlrev_b32_e32 v11, 8, v11
	v_ldexp_f64 v[2:3], |v[2:3]|, v11
	v_rsq_f64_e32 v[18:19], v[2:3]
	v_add_f64 v[6:7], v[6:7], -v[16:17]
	v_mul_f64 v[6:7], v[6:7], 0.5
	v_mul_f64 v[6:7], v[12:13], v[6:7]
	v_mul_f64 v[12:13], v[2:3], v[18:19]
	v_mul_f64 v[16:17], v[18:19], 0.5
	v_fma_f64 v[18:19], -v[16:17], v[12:13], 0.5
	v_fmac_f64_e32 v[12:13], v[12:13], v[18:19]
	v_fma_f64 v[20:21], -v[12:13], v[12:13], v[2:3]
	v_fmac_f64_e32 v[16:17], v[16:17], v[18:19]
	v_fmac_f64_e32 v[12:13], v[20:21], v[16:17]
	v_fma_f64 v[18:19], -v[12:13], v[12:13], v[2:3]
	v_mov_b32_e32 v11, 0xffffff80
	v_fmac_f64_e32 v[12:13], v[18:19], v[16:17]
	v_cndmask_b32_e32 v11, 0, v11, vcc
	v_ldexp_f64 v[12:13], v[12:13], v11
	v_mov_b32_e32 v11, 0x260
	v_cmp_class_f64_e32 vcc, v[2:3], v11
	v_cndmask_b32_e32 v3, v13, v3, vcc
	v_cndmask_b32_e32 v2, v12, v2, vcc
	v_div_scale_f64 v[12:13], s[10:11], v[2:3], v[2:3], v[6:7]
	v_rcp_f64_e32 v[16:17], v[12:13]
	v_fma_f64 v[18:19], -v[12:13], v[16:17], 1.0
	v_fmac_f64_e32 v[16:17], v[16:17], v[18:19]
	v_fma_f64 v[18:19], -v[12:13], v[16:17], 1.0
	v_fmac_f64_e32 v[16:17], v[16:17], v[18:19]
	v_div_scale_f64 v[18:19], vcc, v[6:7], v[2:3], v[6:7]
	v_mul_f64 v[20:21], v[18:19], v[16:17]
	v_fma_f64 v[12:13], -v[12:13], v[20:21], v[18:19]
	s_nop 1
	v_div_fmas_f64 v[12:13], v[12:13], v[16:17], v[20:21]
	v_div_fixup_f64 v[12:13], v[12:13], v[2:3], v[6:7]
.LBB8_1572:
	s_or_b64 exec, exec, s[0:1]
	v_mul_lo_u32 v10, s2, v10
	v_ashrrev_i32_e32 v2, 31, v10
	v_mov_b32_e32 v3, s9
	v_add_co_u32_e32 v6, vcc, s8, v10
	v_addc_co_u32_e32 v7, vcc, v3, v2, vcc
	v_mov_b32_e32 v2, 11
	v_cmp_lt_i16_sdwa s[0:1], v14, v2 src0_sel:BYTE_0 src1_sel:DWORD
	s_and_b64 vcc, exec, s[0:1]
	s_cbranch_vccnz .LBB8_1625
; %bb.1573:
	v_mov_b32_e32 v2, 25
	v_cmp_gt_i16_sdwa s[0:1], v14, v2 src0_sel:BYTE_0 src1_sel:DWORD
	s_mov_b64 s[16:17], -1
	s_mov_b64 s[10:11], 0
	s_and_b64 vcc, exec, s[0:1]
	s_mov_b64 s[12:13], 0
	s_mov_b64 s[0:1], 0
	s_cbranch_vccz .LBB8_1657
; %bb.1574:
	v_mov_b32_e32 v2, 28
	v_cmp_gt_i16_sdwa s[0:1], v14, v2 src0_sel:BYTE_0 src1_sel:DWORD
	s_and_b64 vcc, exec, s[0:1]
	s_cbranch_vccz .LBB8_1626
; %bb.1575:
	v_mov_b32_e32 v2, 43
	v_cmp_gt_i16_sdwa s[0:1], v14, v2 src0_sel:BYTE_0 src1_sel:DWORD
	s_and_b64 vcc, exec, s[0:1]
	;; [unrolled: 5-line block ×3, first 2 shown]
	s_cbranch_vccz .LBB8_1629
; %bb.1577:
	v_mov_b32_e32 v2, 46
	v_cmp_eq_u16_sdwa s[12:13], v14, v2 src0_sel:BYTE_0 src1_sel:DWORD
	s_mov_b64 s[0:1], -1
	s_mov_b64 s[16:17], 0
	s_and_b64 vcc, exec, s[12:13]
	s_mov_b64 s[12:13], 0
	s_cbranch_vccz .LBB8_1630
; %bb.1578:
	v_cvt_f32_f64_e32 v2, v[0:1]
	v_bfe_u32 v3, v2, 16, 1
	s_movk_i32 s0, 0x7fff
	v_add3_u32 v3, v2, v3, s0
	v_lshrrev_b32_e32 v3, 16, v3
	v_mov_b32_e32 v11, 0x7fc0
	v_cmp_o_f32_e32 vcc, v2, v2
	v_cndmask_b32_e32 v2, v11, v3, vcc
	global_store_dword v[6:7], v2, off
	s_mov_b64 s[0:1], 0
	s_mov_b64 s[12:13], -1
	s_branch .LBB8_1630
.LBB8_1579:
	s_mov_b64 s[0:1], 0
                                        ; implicit-def: $vgpr2
                                        ; implicit-def: $vgpr0_vgpr1
                                        ; implicit-def: $vgpr12_vgpr13
.LBB8_1580:
	s_mov_b64 s[2:3], 0
.LBB8_1581:
	s_and_b64 s[12:13], s[2:3], exec
	s_andn2_b64 s[2:3], s[6:7], exec
	s_and_b64 s[6:7], s[14:15], exec
	s_and_b64 s[0:1], s[0:1], exec
	s_or_b64 s[6:7], s[2:3], s[6:7]
.LBB8_1582:
	s_or_b64 exec, exec, s[4:5]
	s_and_saveexec_b64 s[2:3], s[6:7]
	s_cbranch_execz .LBB8_1585
; %bb.1583:
	; divergent unreachable
	s_or_b64 exec, exec, s[2:3]
	s_and_saveexec_b64 s[2:3], s[12:13]
	s_xor_b64 s[2:3], exec, s[2:3]
	s_cbranch_execnz .LBB8_1586
.LBB8_1584:
	s_or_b64 exec, exec, s[2:3]
	s_and_saveexec_b64 s[2:3], s[0:1]
	s_cbranch_execnz .LBB8_1587
	s_branch .LBB8_1624
.LBB8_1585:
	s_or_b64 exec, exec, s[2:3]
	s_and_saveexec_b64 s[2:3], s[12:13]
	s_xor_b64 s[2:3], exec, s[2:3]
	s_cbranch_execz .LBB8_1584
.LBB8_1586:
	v_cmp_neq_f64_e32 vcc, 0, v[12:13]
	s_waitcnt vmcnt(0)
	v_cndmask_b32_e64 v3, 0, 1, vcc
	global_store_byte v[0:1], v3, off
	s_or_b64 exec, exec, s[2:3]
	s_and_saveexec_b64 s[2:3], s[0:1]
	s_cbranch_execz .LBB8_1624
.LBB8_1587:
	s_waitcnt vmcnt(0)
	v_cmp_gt_i16_e32 vcc, 5, v2
	s_mov_b64 s[0:1], -1
	s_cbranch_vccnz .LBB8_1608
; %bb.1588:
	v_cmp_gt_i16_e32 vcc, 8, v2
	s_cbranch_vccnz .LBB8_1598
; %bb.1589:
	v_cmp_gt_i16_e32 vcc, 9, v2
	s_cbranch_vccnz .LBB8_1595
; %bb.1590:
	v_cmp_lt_i16_e32 vcc, 9, v2
	s_cbranch_vccz .LBB8_1592
; %bb.1591:
	v_mov_b32_e32 v14, 0
	v_mov_b32_e32 v15, v14
	global_store_dwordx4 v[0:1], v[12:15], off
	s_mov_b64 s[0:1], 0
.LBB8_1592:
	s_andn2_b64 vcc, exec, s[0:1]
	s_cbranch_vccnz .LBB8_1594
; %bb.1593:
	v_cvt_f32_f64_e32 v4, v[12:13]
	v_mov_b32_e32 v5, 0
	global_store_dwordx2 v[0:1], v[4:5], off
.LBB8_1594:
	s_mov_b64 s[0:1], 0
.LBB8_1595:
	s_andn2_b64 vcc, exec, s[0:1]
	s_cbranch_vccnz .LBB8_1597
; %bb.1596:
	v_cvt_f32_f64_e32 v3, v[12:13]
	v_cvt_f16_f32_e32 v3, v3
	global_store_dword v[0:1], v3, off
.LBB8_1597:
	s_mov_b64 s[0:1], 0
.LBB8_1598:
	s_andn2_b64 vcc, exec, s[0:1]
	s_cbranch_vccnz .LBB8_1607
; %bb.1599:
	v_cmp_gt_i16_e32 vcc, 6, v2
	s_mov_b64 s[0:1], -1
	s_cbranch_vccnz .LBB8_1605
; %bb.1600:
	v_cmp_lt_i16_e32 vcc, 6, v2
	s_cbranch_vccz .LBB8_1602
; %bb.1601:
	global_store_dwordx2 v[0:1], v[12:13], off
	s_mov_b64 s[0:1], 0
.LBB8_1602:
	s_andn2_b64 vcc, exec, s[0:1]
	s_cbranch_vccnz .LBB8_1604
; %bb.1603:
	v_cvt_f32_f64_e32 v3, v[12:13]
	global_store_dword v[0:1], v3, off
.LBB8_1604:
	s_mov_b64 s[0:1], 0
.LBB8_1605:
	s_andn2_b64 vcc, exec, s[0:1]
	s_cbranch_vccnz .LBB8_1607
; %bb.1606:
	v_cvt_f32_f64_e32 v3, v[12:13]
	v_cvt_f16_f32_e32 v3, v3
	global_store_short v[0:1], v3, off
.LBB8_1607:
	s_mov_b64 s[0:1], 0
.LBB8_1608:
	s_andn2_b64 vcc, exec, s[0:1]
	s_cbranch_vccnz .LBB8_1624
; %bb.1609:
	v_cmp_gt_i16_e32 vcc, 2, v2
	s_mov_b64 s[0:1], -1
	s_cbranch_vccnz .LBB8_1619
; %bb.1610:
	v_cmp_gt_i16_e32 vcc, 3, v2
	s_cbranch_vccnz .LBB8_1616
; %bb.1611:
	v_cmp_lt_i16_e32 vcc, 3, v2
	s_cbranch_vccz .LBB8_1613
; %bb.1612:
	v_trunc_f64_e32 v[4:5], v[12:13]
	s_movk_i32 s0, 0xffe0
	v_ldexp_f64 v[6:7], v[4:5], s0
	v_floor_f64_e32 v[6:7], v[6:7]
	v_fmac_f64_e32 v[4:5], 0xc1f00000, v[6:7]
	v_cvt_i32_f64_e32 v9, v[6:7]
	v_cvt_u32_f64_e32 v8, v[4:5]
	global_store_dwordx2 v[0:1], v[8:9], off
	s_mov_b64 s[0:1], 0
.LBB8_1613:
	s_andn2_b64 vcc, exec, s[0:1]
	s_cbranch_vccnz .LBB8_1615
; %bb.1614:
	v_cvt_i32_f64_e32 v3, v[12:13]
	global_store_dword v[0:1], v3, off
.LBB8_1615:
	s_mov_b64 s[0:1], 0
.LBB8_1616:
	s_andn2_b64 vcc, exec, s[0:1]
	s_cbranch_vccnz .LBB8_1618
; %bb.1617:
	v_cvt_i32_f64_e32 v3, v[12:13]
	global_store_short v[0:1], v3, off
.LBB8_1618:
	s_mov_b64 s[0:1], 0
.LBB8_1619:
	s_andn2_b64 vcc, exec, s[0:1]
	s_cbranch_vccnz .LBB8_1624
; %bb.1620:
	v_cmp_lt_i16_e32 vcc, 0, v2
	s_mov_b64 s[0:1], -1
	s_cbranch_vccz .LBB8_1622
; %bb.1621:
	v_cvt_i32_f64_e32 v2, v[12:13]
	global_store_byte v[0:1], v2, off
	s_mov_b64 s[0:1], 0
.LBB8_1622:
	s_andn2_b64 vcc, exec, s[0:1]
	s_cbranch_vccnz .LBB8_1624
; %bb.1623:
	v_trunc_f64_e32 v[2:3], v[12:13]
	s_movk_i32 s0, 0xffe0
	v_ldexp_f64 v[4:5], v[2:3], s0
	v_floor_f64_e32 v[4:5], v[4:5]
	v_fmac_f64_e32 v[2:3], 0xc1f00000, v[4:5]
	v_cvt_u32_f64_e32 v2, v[2:3]
	global_store_byte v[0:1], v2, off
	s_endpgm
.LBB8_1624:
	s_endpgm
.LBB8_1625:
	s_mov_b64 s[0:1], -1
	s_mov_b64 s[12:13], 0
	s_branch .LBB8_1701
.LBB8_1626:
	s_mov_b64 s[0:1], 0
	s_branch .LBB8_1640
.LBB8_1627:
	s_mov_b64 s[0:1], 0
	s_branch .LBB8_1636
.LBB8_1628:
	s_trap 2
	s_or_b64 s[14:15], s[14:15], exec
                                        ; implicit-def: $vgpr2_vgpr3
	s_cbranch_execz .LBB8_1516
	s_branch .LBB8_1517
.LBB8_1629:
	s_mov_b64 s[0:1], 0
.LBB8_1630:
	s_and_b64 vcc, exec, s[16:17]
	s_cbranch_vccz .LBB8_1635
; %bb.1631:
	v_mov_b32_e32 v2, 44
	v_cmp_eq_u16_sdwa s[16:17], v14, v2 src0_sel:BYTE_0 src1_sel:DWORD
	s_mov_b64 s[0:1], -1
	s_and_b64 vcc, exec, s[16:17]
	s_cbranch_vccz .LBB8_1635
; %bb.1632:
	v_cvt_f32_f64_e32 v2, v[0:1]
	v_bfe_u32 v3, v2, 23, 8
	s_movk_i32 s0, 0xff
	v_cmp_ne_u32_e32 vcc, s0, v3
	v_mov_b32_e32 v11, 0xff
	s_and_saveexec_b64 s[12:13], vcc
; %bb.1633:
	s_mov_b32 s0, 0x3fffff
	v_lshrrev_b32_e32 v11, 23, v2
	v_and_b32_e32 v15, 0x400000, v2
	v_and_or_b32 v2, v2, s0, v3
	v_cmp_ne_u32_e32 vcc, 0, v15
	v_cmp_ne_u32_e64 s[0:1], 0, v2
	s_and_b64 s[0:1], vcc, s[0:1]
	v_cndmask_b32_e64 v2, 0, 1, s[0:1]
	v_add_u32_e32 v11, v11, v2
; %bb.1634:
	s_or_b64 exec, exec, s[12:13]
	s_mov_b64 s[0:1], 0
	s_mov_b64 s[12:13], -1
	global_store_byte v[6:7], v11, off
.LBB8_1635:
	s_mov_b64 s[16:17], 0
.LBB8_1636:
	s_and_b64 vcc, exec, s[16:17]
	s_cbranch_vccz .LBB8_1639
; %bb.1637:
	v_mov_b32_e32 v2, 29
	v_cmp_eq_u16_sdwa s[16:17], v14, v2 src0_sel:BYTE_0 src1_sel:DWORD
	s_mov_b64 s[0:1], -1
	s_and_b64 vcc, exec, s[16:17]
	s_cbranch_vccz .LBB8_1639
; %bb.1638:
	v_trunc_f64_e32 v[2:3], v[0:1]
	s_movk_i32 s0, 0xffe0
	v_ldexp_f64 v[16:17], v[2:3], s0
	v_floor_f64_e32 v[16:17], v[16:17]
	v_fmac_f64_e32 v[2:3], 0xc1f00000, v[16:17]
	v_cvt_u32_f64_e32 v19, v[16:17]
	v_cvt_u32_f64_e32 v18, v[2:3]
	global_store_dwordx2 v[6:7], v[18:19], off
	s_mov_b64 s[0:1], 0
	s_mov_b64 s[12:13], -1
.LBB8_1639:
	s_mov_b64 s[16:17], 0
.LBB8_1640:
	s_and_b64 vcc, exec, s[16:17]
	s_cbranch_vccz .LBB8_1656
; %bb.1641:
	v_mov_b32_e32 v2, 27
	v_cmp_lt_i16_sdwa s[16:17], v14, v2 src0_sel:BYTE_0 src1_sel:DWORD
	s_mov_b64 s[12:13], -1
	s_and_b64 vcc, exec, s[16:17]
	s_cbranch_vccnz .LBB8_1647
; %bb.1642:
	v_cmp_gt_i16_sdwa s[16:17], v14, v2 src0_sel:BYTE_0 src1_sel:DWORD
	s_and_b64 vcc, exec, s[16:17]
	v_cvt_u32_f64_e32 v2, v[0:1]
	s_cbranch_vccz .LBB8_1644
; %bb.1643:
	s_mov_b64 s[12:13], 0
	global_store_dword v[6:7], v2, off
.LBB8_1644:
	s_andn2_b64 vcc, exec, s[12:13]
	s_cbranch_vccnz .LBB8_1646
; %bb.1645:
	global_store_short v[6:7], v2, off
.LBB8_1646:
	s_mov_b64 s[12:13], 0
.LBB8_1647:
	s_andn2_b64 vcc, exec, s[12:13]
	s_cbranch_vccnz .LBB8_1655
; %bb.1648:
	v_cvt_f32_f64_e32 v2, v[0:1]
	v_and_b32_e32 v3, 0x7fffffff, v2
	s_mov_b32 s3, 0x43800000
	v_cmp_gt_u32_e32 vcc, s3, v3
	v_mov_b32_e32 v11, 0x80
	s_and_saveexec_b64 s[12:13], vcc
	s_cbranch_execz .LBB8_1654
; %bb.1649:
	s_mov_b32 s3, 0x3bffffff
	v_cmp_lt_u32_e32 vcc, s3, v3
	s_mov_b64 s[16:17], 0
                                        ; implicit-def: $vgpr3
	s_and_saveexec_b64 s[18:19], vcc
	s_xor_b64 s[18:19], exec, s[18:19]
	s_cbranch_execz .LBB8_1750
; %bb.1650:
	v_bfe_u32 v3, v2, 20, 1
	s_mov_b32 s3, 0x487ffff
	v_add3_u32 v3, v2, v3, s3
	s_mov_b64 s[16:17], exec
	v_lshrrev_b32_e32 v3, 20, v3
	s_or_saveexec_b64 s[18:19], s[18:19]
                                        ; implicit-def: $sgpr3
	s_xor_b64 exec, exec, s[18:19]
	s_cbranch_execnz .LBB8_1751
.LBB8_1651:
	s_or_b64 exec, exec, s[18:19]
	v_mov_b32_e32 v11, s3
	s_and_saveexec_b64 s[18:19], s[16:17]
.LBB8_1652:
	v_lshrrev_b32_e32 v2, 24, v2
	s_movk_i32 s3, 0x80
	v_and_or_b32 v11, v2, s3, v3
.LBB8_1653:
	s_or_b64 exec, exec, s[18:19]
.LBB8_1654:
	s_or_b64 exec, exec, s[12:13]
	global_store_byte v[6:7], v11, off
.LBB8_1655:
	s_mov_b64 s[12:13], -1
.LBB8_1656:
	s_mov_b64 s[16:17], 0
.LBB8_1657:
	s_and_b64 vcc, exec, s[16:17]
	s_cbranch_vccz .LBB8_1697
; %bb.1658:
	v_mov_b32_e32 v2, 22
	v_cmp_gt_i16_sdwa s[16:17], v14, v2 src0_sel:BYTE_0 src1_sel:DWORD
	s_mov_b64 s[10:11], -1
	s_and_b64 vcc, exec, s[16:17]
	s_cbranch_vccz .LBB8_1690
; %bb.1659:
	v_mov_b32_e32 v2, 24
	v_cmp_lt_i16_sdwa s[12:13], v14, v2 src0_sel:BYTE_0 src1_sel:DWORD
	s_and_b64 vcc, exec, s[12:13]
	s_cbranch_vccnz .LBB8_1679
; %bb.1660:
	v_cmp_gt_i16_sdwa s[12:13], v14, v2 src0_sel:BYTE_0 src1_sel:DWORD
	s_and_b64 vcc, exec, s[12:13]
	s_cbranch_vccz .LBB8_1668
; %bb.1661:
	v_cvt_f32_f64_e32 v2, v[0:1]
	v_and_b32_e32 v3, 0x7fffffff, v2
	s_mov_b32 s3, 0x47800000
	v_cmp_gt_u32_e32 vcc, s3, v3
	v_mov_b32_e32 v11, 0x80
	s_and_saveexec_b64 s[10:11], vcc
	s_cbranch_execz .LBB8_1667
; %bb.1662:
	s_mov_b32 s3, 0x37ffffff
	v_cmp_lt_u32_e32 vcc, s3, v3
	s_mov_b64 s[12:13], 0
                                        ; implicit-def: $vgpr3
	s_and_saveexec_b64 s[16:17], vcc
	s_xor_b64 s[16:17], exec, s[16:17]
	s_cbranch_execz .LBB8_1754
; %bb.1663:
	v_bfe_u32 v3, v2, 21, 1
	s_mov_b32 s3, 0x88fffff
	v_add3_u32 v3, v2, v3, s3
	s_mov_b64 s[12:13], exec
	v_lshrrev_b32_e32 v3, 21, v3
	s_or_saveexec_b64 s[16:17], s[16:17]
                                        ; implicit-def: $sgpr3
	s_xor_b64 exec, exec, s[16:17]
	s_cbranch_execnz .LBB8_1755
.LBB8_1664:
	s_or_b64 exec, exec, s[16:17]
	v_mov_b32_e32 v11, s3
	s_and_saveexec_b64 s[16:17], s[12:13]
.LBB8_1665:
	v_lshrrev_b32_e32 v2, 24, v2
	s_movk_i32 s3, 0x80
	v_and_or_b32 v11, v2, s3, v3
.LBB8_1666:
	s_or_b64 exec, exec, s[16:17]
.LBB8_1667:
	s_or_b64 exec, exec, s[10:11]
	s_mov_b64 s[10:11], 0
	global_store_byte v[6:7], v11, off
.LBB8_1668:
	s_and_b64 vcc, exec, s[10:11]
	s_cbranch_vccz .LBB8_1678
; %bb.1669:
	v_cvt_f32_f64_e32 v2, v[0:1]
	v_and_b32_e32 v11, 0x7fffffff, v2
	s_mov_b32 s3, 0x43f00000
	v_cmp_gt_u32_e32 vcc, s3, v11
                                        ; implicit-def: $vgpr3
	s_and_saveexec_b64 s[10:11], vcc
	s_xor_b64 s[10:11], exec, s[10:11]
	s_cbranch_execz .LBB8_1675
; %bb.1670:
	s_mov_b32 s3, 0x3c7fffff
	v_cmp_lt_u32_e32 vcc, s3, v11
                                        ; implicit-def: $vgpr3
	s_and_saveexec_b64 s[12:13], vcc
	s_xor_b64 s[12:13], exec, s[12:13]
; %bb.1671:
	v_bfe_u32 v3, v2, 20, 1
	s_mov_b32 s3, 0x407ffff
	v_add3_u32 v3, v2, v3, s3
	v_lshrrev_b32_e32 v11, 20, v3
	v_and_b32_e32 v3, 0xff00000, v3
	s_mov_b32 s3, 0x7f00000
	v_mov_b32_e32 v15, 0x7e
	v_cmp_ne_u32_e32 vcc, s3, v3
	v_cndmask_b32_e32 v3, v15, v11, vcc
; %bb.1672:
	s_andn2_saveexec_b64 s[12:13], s[12:13]
; %bb.1673:
	s_mov_b32 s3, 0x46800000
	v_add_f32_e64 v3, |v2|, s3
; %bb.1674:
	s_or_b64 exec, exec, s[12:13]
                                        ; implicit-def: $vgpr11
.LBB8_1675:
	s_andn2_saveexec_b64 s[10:11], s[10:11]
; %bb.1676:
	s_mov_b32 s3, 0x7f800000
	v_mov_b32_e32 v3, 0x7e
	v_mov_b32_e32 v15, 0x7f
	v_cmp_lt_u32_e32 vcc, s3, v11
	v_cndmask_b32_e32 v3, v3, v15, vcc
; %bb.1677:
	s_or_b64 exec, exec, s[10:11]
	v_lshrrev_b32_e32 v2, 24, v2
	s_movk_i32 s3, 0x80
	v_and_or_b32 v2, v2, s3, v3
	global_store_byte v[6:7], v2, off
.LBB8_1678:
	s_mov_b64 s[10:11], 0
.LBB8_1679:
	s_andn2_b64 vcc, exec, s[10:11]
	s_cbranch_vccnz .LBB8_1689
; %bb.1680:
	v_cvt_f32_f64_e32 v2, v[0:1]
	v_and_b32_e32 v11, 0x7fffffff, v2
	s_mov_b32 s3, 0x47800000
	v_cmp_gt_u32_e32 vcc, s3, v11
                                        ; implicit-def: $vgpr3
	s_and_saveexec_b64 s[10:11], vcc
	s_xor_b64 s[10:11], exec, s[10:11]
	s_cbranch_execz .LBB8_1686
; %bb.1681:
	s_mov_b32 s3, 0x387fffff
	v_cmp_lt_u32_e32 vcc, s3, v11
                                        ; implicit-def: $vgpr3
	s_and_saveexec_b64 s[12:13], vcc
	s_xor_b64 s[12:13], exec, s[12:13]
; %bb.1682:
	v_bfe_u32 v3, v2, 21, 1
	s_mov_b32 s3, 0x80fffff
	v_add3_u32 v3, v2, v3, s3
	v_lshrrev_b32_e32 v3, 21, v3
; %bb.1683:
	s_andn2_saveexec_b64 s[12:13], s[12:13]
; %bb.1684:
	s_mov_b32 s3, 0x43000000
	v_add_f32_e64 v3, |v2|, s3
; %bb.1685:
	s_or_b64 exec, exec, s[12:13]
                                        ; implicit-def: $vgpr11
.LBB8_1686:
	s_andn2_saveexec_b64 s[10:11], s[10:11]
; %bb.1687:
	s_mov_b32 s3, 0x7f800000
	v_mov_b32_e32 v3, 0x7c
	v_mov_b32_e32 v15, 0x7f
	v_cmp_lt_u32_e32 vcc, s3, v11
	v_cndmask_b32_e32 v3, v3, v15, vcc
; %bb.1688:
	s_or_b64 exec, exec, s[10:11]
	v_lshrrev_b32_e32 v2, 24, v2
	s_movk_i32 s3, 0x80
	v_and_or_b32 v2, v2, s3, v3
	global_store_byte v[6:7], v2, off
.LBB8_1689:
	s_mov_b64 s[10:11], 0
	s_mov_b64 s[12:13], -1
.LBB8_1690:
	s_andn2_b64 vcc, exec, s[10:11]
	s_mov_b64 s[10:11], 0
	s_cbranch_vccnz .LBB8_1697
; %bb.1691:
	v_mov_b32_e32 v2, 14
	v_cmp_gt_i16_sdwa s[10:11], v14, v2 src0_sel:BYTE_0 src1_sel:DWORD
	s_mov_b64 s[16:17], -1
	s_and_b64 vcc, exec, s[10:11]
	s_cbranch_vccz .LBB8_1695
; %bb.1692:
	v_mov_b32_e32 v2, 15
	v_cmp_eq_u16_sdwa s[10:11], v14, v2 src0_sel:BYTE_0 src1_sel:DWORD
	s_mov_b64 s[0:1], -1
	s_and_b64 vcc, exec, s[10:11]
	s_cbranch_vccz .LBB8_1694
; %bb.1693:
	v_cvt_f32_f64_e32 v2, v[0:1]
	v_bfe_u32 v3, v2, 16, 1
	s_movk_i32 s0, 0x7fff
	v_add3_u32 v3, v2, v3, s0
	v_lshrrev_b32_e32 v3, 16, v3
	v_mov_b32_e32 v11, 0x7fc0
	v_cmp_o_f32_e32 vcc, v2, v2
	v_cndmask_b32_e32 v2, v11, v3, vcc
	global_store_short v[6:7], v2, off
	s_mov_b64 s[0:1], 0
	s_mov_b64 s[12:13], -1
.LBB8_1694:
	s_mov_b64 s[16:17], 0
.LBB8_1695:
	s_mov_b64 s[10:11], 0
	s_and_b64 vcc, exec, s[16:17]
	s_cbranch_vccz .LBB8_1697
; %bb.1696:
	v_mov_b32_e32 v2, 11
	v_cmp_ne_u16_sdwa s[0:1], v14, v2 src0_sel:BYTE_0 src1_sel:DWORD
	s_mov_b64 s[10:11], -1
.LBB8_1697:
	s_and_b64 vcc, exec, s[0:1]
	s_cbranch_vccnz .LBB8_1753
; %bb.1698:
	s_andn2_b64 vcc, exec, s[10:11]
	s_cbranch_vccnz .LBB8_1700
.LBB8_1699:
	v_cmp_neq_f64_e32 vcc, 0, v[0:1]
	v_cndmask_b32_e64 v2, 0, 1, vcc
	s_mov_b64 s[12:13], -1
	global_store_byte v[6:7], v2, off
.LBB8_1700:
	s_mov_b64 s[0:1], 0
.LBB8_1701:
	s_and_b64 vcc, exec, s[0:1]
	s_cbranch_vccz .LBB8_1740
; %bb.1702:
	v_mov_b32_e32 v2, 5
	v_cmp_lt_i16_sdwa s[10:11], v14, v2 src0_sel:BYTE_0 src1_sel:DWORD
	s_mov_b64 s[0:1], -1
	s_and_b64 vcc, exec, s[10:11]
	s_cbranch_vccnz .LBB8_1723
; %bb.1703:
	v_mov_b32_e32 v2, 8
	v_cmp_lt_i16_sdwa s[10:11], v14, v2 src0_sel:BYTE_0 src1_sel:DWORD
	s_and_b64 vcc, exec, s[10:11]
	s_cbranch_vccnz .LBB8_1713
; %bb.1704:
	v_mov_b32_e32 v2, 9
	v_cmp_lt_i16_sdwa s[10:11], v14, v2 src0_sel:BYTE_0 src1_sel:DWORD
	s_and_b64 vcc, exec, s[10:11]
	s_cbranch_vccnz .LBB8_1710
; %bb.1705:
	v_cmp_gt_i16_sdwa s[10:11], v14, v2 src0_sel:BYTE_0 src1_sel:DWORD
	s_and_b64 vcc, exec, s[10:11]
	s_cbranch_vccz .LBB8_1707
; %bb.1706:
	v_mov_b32_e32 v2, 0
	v_mov_b32_e32 v3, v2
	global_store_dwordx4 v[6:7], v[0:3], off
	s_mov_b64 s[0:1], 0
.LBB8_1707:
	s_andn2_b64 vcc, exec, s[0:1]
	s_cbranch_vccnz .LBB8_1709
; %bb.1708:
	v_cvt_f32_f64_e32 v2, v[0:1]
	v_mov_b32_e32 v3, 0
	global_store_dwordx2 v[6:7], v[2:3], off
.LBB8_1709:
	s_mov_b64 s[0:1], 0
.LBB8_1710:
	s_andn2_b64 vcc, exec, s[0:1]
	s_cbranch_vccnz .LBB8_1712
; %bb.1711:
	v_cvt_f32_f64_e32 v2, v[0:1]
	v_cvt_f16_f32_e32 v2, v2
	global_store_dword v[6:7], v2, off
.LBB8_1712:
	s_mov_b64 s[0:1], 0
.LBB8_1713:
	s_andn2_b64 vcc, exec, s[0:1]
	s_cbranch_vccnz .LBB8_1722
; %bb.1714:
	v_mov_b32_e32 v2, 6
	v_cmp_lt_i16_sdwa s[10:11], v14, v2 src0_sel:BYTE_0 src1_sel:DWORD
	s_mov_b64 s[0:1], -1
	s_and_b64 vcc, exec, s[10:11]
	s_cbranch_vccnz .LBB8_1720
; %bb.1715:
	v_cmp_gt_i16_sdwa s[10:11], v14, v2 src0_sel:BYTE_0 src1_sel:DWORD
	s_and_b64 vcc, exec, s[10:11]
	s_cbranch_vccz .LBB8_1717
; %bb.1716:
	global_store_dwordx2 v[6:7], v[0:1], off
	s_mov_b64 s[0:1], 0
.LBB8_1717:
	s_andn2_b64 vcc, exec, s[0:1]
	s_cbranch_vccnz .LBB8_1719
; %bb.1718:
	v_cvt_f32_f64_e32 v2, v[0:1]
	global_store_dword v[6:7], v2, off
.LBB8_1719:
	s_mov_b64 s[0:1], 0
.LBB8_1720:
	s_andn2_b64 vcc, exec, s[0:1]
	s_cbranch_vccnz .LBB8_1722
; %bb.1721:
	v_cvt_f32_f64_e32 v2, v[0:1]
	v_cvt_f16_f32_e32 v2, v2
	global_store_short v[6:7], v2, off
.LBB8_1722:
	s_mov_b64 s[0:1], 0
.LBB8_1723:
	s_andn2_b64 vcc, exec, s[0:1]
	s_cbranch_vccnz .LBB8_1739
; %bb.1724:
	v_mov_b32_e32 v2, 2
	v_cmp_lt_i16_sdwa s[10:11], v14, v2 src0_sel:BYTE_0 src1_sel:DWORD
	s_mov_b64 s[0:1], -1
	s_and_b64 vcc, exec, s[10:11]
	s_cbranch_vccnz .LBB8_1734
; %bb.1725:
	v_mov_b32_e32 v2, 3
	v_cmp_lt_i16_sdwa s[10:11], v14, v2 src0_sel:BYTE_0 src1_sel:DWORD
	s_and_b64 vcc, exec, s[10:11]
	s_cbranch_vccnz .LBB8_1731
; %bb.1726:
	v_cmp_gt_i16_sdwa s[10:11], v14, v2 src0_sel:BYTE_0 src1_sel:DWORD
	s_and_b64 vcc, exec, s[10:11]
	s_cbranch_vccz .LBB8_1728
; %bb.1727:
	v_trunc_f64_e32 v[2:3], v[0:1]
	s_movk_i32 s0, 0xffe0
	v_ldexp_f64 v[16:17], v[2:3], s0
	v_floor_f64_e32 v[16:17], v[16:17]
	v_fmac_f64_e32 v[2:3], 0xc1f00000, v[16:17]
	v_cvt_i32_f64_e32 v19, v[16:17]
	v_cvt_u32_f64_e32 v18, v[2:3]
	global_store_dwordx2 v[6:7], v[18:19], off
	s_mov_b64 s[0:1], 0
.LBB8_1728:
	s_andn2_b64 vcc, exec, s[0:1]
	s_cbranch_vccnz .LBB8_1730
; %bb.1729:
	v_cvt_i32_f64_e32 v2, v[0:1]
	global_store_dword v[6:7], v2, off
.LBB8_1730:
	s_mov_b64 s[0:1], 0
.LBB8_1731:
	s_andn2_b64 vcc, exec, s[0:1]
	s_cbranch_vccnz .LBB8_1733
; %bb.1732:
	v_cvt_i32_f64_e32 v2, v[0:1]
	global_store_short v[6:7], v2, off
.LBB8_1733:
	s_mov_b64 s[0:1], 0
.LBB8_1734:
	s_andn2_b64 vcc, exec, s[0:1]
	s_cbranch_vccnz .LBB8_1739
; %bb.1735:
	v_mov_b32_e32 v2, 0
	v_cmp_gt_i16_sdwa s[10:11], v14, v2 src0_sel:BYTE_0 src1_sel:DWORD
	s_mov_b64 s[0:1], -1
	s_and_b64 vcc, exec, s[10:11]
	s_cbranch_vccz .LBB8_1737
; %bb.1736:
	v_cvt_i32_f64_e32 v2, v[0:1]
	global_store_byte v[6:7], v2, off
	s_mov_b64 s[0:1], 0
.LBB8_1737:
	s_andn2_b64 vcc, exec, s[0:1]
	s_cbranch_vccnz .LBB8_1739
; %bb.1738:
	v_trunc_f64_e32 v[0:1], v[0:1]
	s_movk_i32 s0, 0xffe0
	v_ldexp_f64 v[2:3], v[0:1], s0
	v_floor_f64_e32 v[2:3], v[2:3]
	v_fmac_f64_e32 v[0:1], 0xc1f00000, v[2:3]
	v_cvt_u32_f64_e32 v0, v[0:1]
	global_store_byte v[6:7], v0, off
.LBB8_1739:
	s_mov_b64 s[12:13], -1
.LBB8_1740:
	s_andn2_b64 vcc, exec, s[12:13]
	s_cbranch_vccnz .LBB8_2071
; %bb.1741:
	s_lshl_b32 s18, s2, 7
	v_add_u32_e32 v2, s18, v10
	v_ashrrev_i32_e32 v1, 31, v2
	v_mov_b32_e32 v3, s9
	v_add_co_u32_e32 v0, vcc, s8, v2
	v_addc_co_u32_e32 v1, vcc, v3, v1, vcc
	v_mov_b32_e32 v3, 11
	v_cmp_lt_i16_sdwa s[0:1], v14, v3 src0_sel:BYTE_0 src1_sel:DWORD
	s_and_b64 vcc, exec, s[0:1]
	s_cbranch_vccnz .LBB8_1748
; %bb.1742:
	v_mov_b32_e32 v3, 25
	v_cmp_gt_i16_sdwa s[0:1], v14, v3 src0_sel:BYTE_0 src1_sel:DWORD
	s_mov_b64 s[12:13], -1
	s_mov_b64 s[2:3], 0
	s_and_b64 vcc, exec, s[0:1]
	s_mov_b64 s[10:11], 0
	s_mov_b64 s[0:1], 0
	s_cbranch_vccz .LBB8_1784
; %bb.1743:
	v_mov_b32_e32 v3, 28
	v_cmp_gt_i16_sdwa s[0:1], v14, v3 src0_sel:BYTE_0 src1_sel:DWORD
	s_and_b64 vcc, exec, s[0:1]
	s_cbranch_vccz .LBB8_1749
; %bb.1744:
	v_mov_b32_e32 v3, 43
	v_cmp_gt_i16_sdwa s[0:1], v14, v3 src0_sel:BYTE_0 src1_sel:DWORD
	s_and_b64 vcc, exec, s[0:1]
	;; [unrolled: 5-line block ×3, first 2 shown]
	s_cbranch_vccz .LBB8_1756
; %bb.1746:
	v_mov_b32_e32 v3, 46
	v_cmp_eq_u16_sdwa s[10:11], v14, v3 src0_sel:BYTE_0 src1_sel:DWORD
	s_mov_b64 s[0:1], -1
	s_mov_b64 s[12:13], 0
	s_and_b64 vcc, exec, s[10:11]
	s_mov_b64 s[10:11], 0
	s_cbranch_vccz .LBB8_1757
; %bb.1747:
	v_cvt_f32_f64_e32 v3, v[4:5]
	v_bfe_u32 v6, v3, 16, 1
	s_movk_i32 s0, 0x7fff
	v_add3_u32 v6, v3, v6, s0
	v_lshrrev_b32_e32 v6, 16, v6
	v_mov_b32_e32 v7, 0x7fc0
	v_cmp_o_f32_e32 vcc, v3, v3
	v_cndmask_b32_e32 v3, v7, v6, vcc
	global_store_dword v[0:1], v3, off
	s_mov_b64 s[0:1], 0
	s_mov_b64 s[10:11], -1
	s_branch .LBB8_1757
.LBB8_1748:
	s_mov_b64 s[0:1], -1
	s_mov_b64 s[10:11], 0
	s_branch .LBB8_1828
.LBB8_1749:
	s_mov_b64 s[0:1], 0
	s_branch .LBB8_1767
.LBB8_1750:
	s_or_saveexec_b64 s[18:19], s[18:19]
                                        ; implicit-def: $sgpr3
	s_xor_b64 exec, exec, s[18:19]
	s_cbranch_execz .LBB8_1651
.LBB8_1751:
	s_mov_b32 s3, 0x46000000
	v_add_f32_e64 v3, |v2|, s3
	v_and_b32_e32 v3, 0xff, v3
	v_cmp_ne_u32_e32 vcc, 0, v3
	s_andn2_b64 s[16:17], s[16:17], exec
	s_and_b64 s[20:21], vcc, exec
	s_mov_b32 s3, 0
	s_or_b64 s[16:17], s[16:17], s[20:21]
	s_or_b64 exec, exec, s[18:19]
	v_mov_b32_e32 v11, s3
	s_and_saveexec_b64 s[18:19], s[16:17]
	s_cbranch_execnz .LBB8_1652
	s_branch .LBB8_1653
.LBB8_1752:
	s_mov_b64 s[0:1], 0
	s_branch .LBB8_1763
.LBB8_1753:
	s_trap 2
	s_or_b64 s[14:15], s[14:15], exec
	s_cbranch_execz .LBB8_1699
	s_branch .LBB8_1700
.LBB8_1754:
	s_or_saveexec_b64 s[16:17], s[16:17]
                                        ; implicit-def: $sgpr3
	s_xor_b64 exec, exec, s[16:17]
	s_cbranch_execz .LBB8_1664
.LBB8_1755:
	s_mov_b32 s3, 0x42800000
	v_add_f32_e64 v3, |v2|, s3
	v_and_b32_e32 v3, 0xff, v3
	v_cmp_ne_u32_e32 vcc, 0, v3
	s_andn2_b64 s[12:13], s[12:13], exec
	s_and_b64 s[18:19], vcc, exec
	s_mov_b32 s3, 0
	s_or_b64 s[12:13], s[12:13], s[18:19]
	s_or_b64 exec, exec, s[16:17]
	v_mov_b32_e32 v11, s3
	s_and_saveexec_b64 s[16:17], s[12:13]
	s_cbranch_execnz .LBB8_1665
	s_branch .LBB8_1666
.LBB8_1756:
	s_mov_b64 s[0:1], 0
.LBB8_1757:
	s_and_b64 vcc, exec, s[12:13]
	s_cbranch_vccz .LBB8_1762
; %bb.1758:
	v_mov_b32_e32 v3, 44
	v_cmp_eq_u16_sdwa s[12:13], v14, v3 src0_sel:BYTE_0 src1_sel:DWORD
	s_mov_b64 s[0:1], -1
	s_and_b64 vcc, exec, s[12:13]
	s_cbranch_vccz .LBB8_1762
; %bb.1759:
	v_cvt_f32_f64_e32 v3, v[4:5]
	v_bfe_u32 v6, v3, 23, 8
	s_movk_i32 s0, 0xff
	v_cmp_ne_u32_e32 vcc, s0, v6
	v_mov_b32_e32 v7, 0xff
	s_and_saveexec_b64 s[10:11], vcc
; %bb.1760:
	s_mov_b32 s0, 0x3fffff
	v_lshrrev_b32_e32 v7, 23, v3
	v_and_b32_e32 v10, 0x400000, v3
	v_and_or_b32 v3, v3, s0, v6
	v_cmp_ne_u32_e32 vcc, 0, v10
	v_cmp_ne_u32_e64 s[0:1], 0, v3
	s_and_b64 s[0:1], vcc, s[0:1]
	v_cndmask_b32_e64 v3, 0, 1, s[0:1]
	v_add_u32_e32 v7, v7, v3
; %bb.1761:
	s_or_b64 exec, exec, s[10:11]
	s_mov_b64 s[0:1], 0
	s_mov_b64 s[10:11], -1
	global_store_byte v[0:1], v7, off
.LBB8_1762:
	s_mov_b64 s[12:13], 0
.LBB8_1763:
	s_and_b64 vcc, exec, s[12:13]
	s_cbranch_vccz .LBB8_1766
; %bb.1764:
	v_mov_b32_e32 v3, 29
	v_cmp_eq_u16_sdwa s[12:13], v14, v3 src0_sel:BYTE_0 src1_sel:DWORD
	s_mov_b64 s[0:1], -1
	s_and_b64 vcc, exec, s[12:13]
	s_cbranch_vccz .LBB8_1766
; %bb.1765:
	v_trunc_f64_e32 v[6:7], v[4:5]
	s_movk_i32 s0, 0xffe0
	v_ldexp_f64 v[10:11], v[6:7], s0
	v_floor_f64_e32 v[10:11], v[10:11]
	v_fmac_f64_e32 v[6:7], 0xc1f00000, v[10:11]
	v_cvt_u32_f64_e32 v17, v[10:11]
	v_cvt_u32_f64_e32 v16, v[6:7]
	global_store_dwordx2 v[0:1], v[16:17], off
	s_mov_b64 s[0:1], 0
	s_mov_b64 s[10:11], -1
.LBB8_1766:
	s_mov_b64 s[12:13], 0
.LBB8_1767:
	s_and_b64 vcc, exec, s[12:13]
	s_cbranch_vccz .LBB8_1783
; %bb.1768:
	v_mov_b32_e32 v3, 27
	v_cmp_lt_i16_sdwa s[12:13], v14, v3 src0_sel:BYTE_0 src1_sel:DWORD
	s_mov_b64 s[10:11], -1
	s_and_b64 vcc, exec, s[12:13]
	s_cbranch_vccnz .LBB8_1774
; %bb.1769:
	v_cmp_gt_i16_sdwa s[12:13], v14, v3 src0_sel:BYTE_0 src1_sel:DWORD
	s_and_b64 vcc, exec, s[12:13]
	v_cvt_u32_f64_e32 v3, v[4:5]
	s_cbranch_vccz .LBB8_1771
; %bb.1770:
	s_mov_b64 s[10:11], 0
	global_store_dword v[0:1], v3, off
.LBB8_1771:
	s_andn2_b64 vcc, exec, s[10:11]
	s_cbranch_vccnz .LBB8_1773
; %bb.1772:
	global_store_short v[0:1], v3, off
.LBB8_1773:
	s_mov_b64 s[10:11], 0
.LBB8_1774:
	s_andn2_b64 vcc, exec, s[10:11]
	s_cbranch_vccnz .LBB8_1782
; %bb.1775:
	v_cvt_f32_f64_e32 v3, v[4:5]
	v_and_b32_e32 v6, 0x7fffffff, v3
	s_mov_b32 s10, 0x43800000
	v_cmp_gt_u32_e32 vcc, s10, v6
	v_mov_b32_e32 v7, 0x80
	s_and_saveexec_b64 s[10:11], vcc
	s_cbranch_execz .LBB8_1781
; %bb.1776:
	s_mov_b32 s12, 0x3bffffff
	v_cmp_lt_u32_e32 vcc, s12, v6
	s_mov_b64 s[12:13], 0
                                        ; implicit-def: $vgpr6
	s_and_saveexec_b64 s[16:17], vcc
	s_xor_b64 s[16:17], exec, s[16:17]
	s_cbranch_execz .LBB8_1877
; %bb.1777:
	v_bfe_u32 v6, v3, 20, 1
	s_mov_b32 s19, 0x487ffff
	v_add3_u32 v6, v3, v6, s19
	s_mov_b64 s[12:13], exec
	v_lshrrev_b32_e32 v6, 20, v6
	s_or_saveexec_b64 s[16:17], s[16:17]
                                        ; implicit-def: $sgpr19
	s_xor_b64 exec, exec, s[16:17]
	s_cbranch_execnz .LBB8_1878
.LBB8_1778:
	s_or_b64 exec, exec, s[16:17]
	v_mov_b32_e32 v7, s19
	s_and_saveexec_b64 s[16:17], s[12:13]
.LBB8_1779:
	v_lshrrev_b32_e32 v3, 24, v3
	s_movk_i32 s12, 0x80
	v_and_or_b32 v7, v3, s12, v6
.LBB8_1780:
	s_or_b64 exec, exec, s[16:17]
.LBB8_1781:
	s_or_b64 exec, exec, s[10:11]
	global_store_byte v[0:1], v7, off
.LBB8_1782:
	s_mov_b64 s[10:11], -1
.LBB8_1783:
	s_mov_b64 s[12:13], 0
.LBB8_1784:
	s_and_b64 vcc, exec, s[12:13]
	s_cbranch_vccz .LBB8_1824
; %bb.1785:
	v_mov_b32_e32 v3, 22
	v_cmp_gt_i16_sdwa s[12:13], v14, v3 src0_sel:BYTE_0 src1_sel:DWORD
	s_mov_b64 s[2:3], -1
	s_and_b64 vcc, exec, s[12:13]
	s_cbranch_vccz .LBB8_1817
; %bb.1786:
	v_mov_b32_e32 v3, 24
	v_cmp_lt_i16_sdwa s[10:11], v14, v3 src0_sel:BYTE_0 src1_sel:DWORD
	s_and_b64 vcc, exec, s[10:11]
	s_cbranch_vccnz .LBB8_1806
; %bb.1787:
	v_cmp_gt_i16_sdwa s[10:11], v14, v3 src0_sel:BYTE_0 src1_sel:DWORD
	s_and_b64 vcc, exec, s[10:11]
	s_cbranch_vccz .LBB8_1795
; %bb.1788:
	v_cvt_f32_f64_e32 v3, v[4:5]
	v_and_b32_e32 v6, 0x7fffffff, v3
	s_mov_b32 s2, 0x47800000
	v_cmp_gt_u32_e32 vcc, s2, v6
	v_mov_b32_e32 v7, 0x80
	s_and_saveexec_b64 s[2:3], vcc
	s_cbranch_execz .LBB8_1794
; %bb.1789:
	s_mov_b32 s10, 0x37ffffff
	v_cmp_lt_u32_e32 vcc, s10, v6
	s_mov_b64 s[10:11], 0
                                        ; implicit-def: $vgpr6
	s_and_saveexec_b64 s[12:13], vcc
	s_xor_b64 s[12:13], exec, s[12:13]
	s_cbranch_execz .LBB8_1881
; %bb.1790:
	v_bfe_u32 v6, v3, 21, 1
	s_mov_b32 s16, 0x88fffff
	v_add3_u32 v6, v3, v6, s16
	s_mov_b64 s[10:11], exec
	v_lshrrev_b32_e32 v6, 21, v6
	s_or_saveexec_b64 s[12:13], s[12:13]
                                        ; implicit-def: $sgpr16
	s_xor_b64 exec, exec, s[12:13]
	s_cbranch_execnz .LBB8_1882
.LBB8_1791:
	s_or_b64 exec, exec, s[12:13]
	v_mov_b32_e32 v7, s16
	s_and_saveexec_b64 s[12:13], s[10:11]
.LBB8_1792:
	v_lshrrev_b32_e32 v3, 24, v3
	s_movk_i32 s10, 0x80
	v_and_or_b32 v7, v3, s10, v6
.LBB8_1793:
	s_or_b64 exec, exec, s[12:13]
.LBB8_1794:
	s_or_b64 exec, exec, s[2:3]
	s_mov_b64 s[2:3], 0
	global_store_byte v[0:1], v7, off
.LBB8_1795:
	s_and_b64 vcc, exec, s[2:3]
	s_cbranch_vccz .LBB8_1805
; %bb.1796:
	v_cvt_f32_f64_e32 v3, v[4:5]
	v_and_b32_e32 v7, 0x7fffffff, v3
	s_mov_b32 s2, 0x43f00000
	v_cmp_gt_u32_e32 vcc, s2, v7
                                        ; implicit-def: $vgpr6
	s_and_saveexec_b64 s[2:3], vcc
	s_xor_b64 s[2:3], exec, s[2:3]
	s_cbranch_execz .LBB8_1802
; %bb.1797:
	s_mov_b32 s10, 0x3c7fffff
	v_cmp_lt_u32_e32 vcc, s10, v7
                                        ; implicit-def: $vgpr6
	s_and_saveexec_b64 s[10:11], vcc
	s_xor_b64 s[10:11], exec, s[10:11]
; %bb.1798:
	v_bfe_u32 v6, v3, 20, 1
	s_mov_b32 s12, 0x407ffff
	v_add3_u32 v6, v3, v6, s12
	v_lshrrev_b32_e32 v7, 20, v6
	v_and_b32_e32 v6, 0xff00000, v6
	s_mov_b32 s12, 0x7f00000
	v_mov_b32_e32 v10, 0x7e
	v_cmp_ne_u32_e32 vcc, s12, v6
	v_cndmask_b32_e32 v6, v10, v7, vcc
; %bb.1799:
	s_andn2_saveexec_b64 s[10:11], s[10:11]
; %bb.1800:
	s_mov_b32 s12, 0x46800000
	v_add_f32_e64 v6, |v3|, s12
; %bb.1801:
	s_or_b64 exec, exec, s[10:11]
                                        ; implicit-def: $vgpr7
.LBB8_1802:
	s_andn2_saveexec_b64 s[2:3], s[2:3]
; %bb.1803:
	s_mov_b32 s10, 0x7f800000
	v_mov_b32_e32 v6, 0x7e
	v_mov_b32_e32 v10, 0x7f
	v_cmp_lt_u32_e32 vcc, s10, v7
	v_cndmask_b32_e32 v6, v6, v10, vcc
; %bb.1804:
	s_or_b64 exec, exec, s[2:3]
	v_lshrrev_b32_e32 v3, 24, v3
	s_movk_i32 s2, 0x80
	v_and_or_b32 v3, v3, s2, v6
	global_store_byte v[0:1], v3, off
.LBB8_1805:
	s_mov_b64 s[2:3], 0
.LBB8_1806:
	s_andn2_b64 vcc, exec, s[2:3]
	s_cbranch_vccnz .LBB8_1816
; %bb.1807:
	v_cvt_f32_f64_e32 v3, v[4:5]
	v_and_b32_e32 v7, 0x7fffffff, v3
	s_mov_b32 s2, 0x47800000
	v_cmp_gt_u32_e32 vcc, s2, v7
                                        ; implicit-def: $vgpr6
	s_and_saveexec_b64 s[2:3], vcc
	s_xor_b64 s[2:3], exec, s[2:3]
	s_cbranch_execz .LBB8_1813
; %bb.1808:
	s_mov_b32 s10, 0x387fffff
	v_cmp_lt_u32_e32 vcc, s10, v7
                                        ; implicit-def: $vgpr6
	s_and_saveexec_b64 s[10:11], vcc
	s_xor_b64 s[10:11], exec, s[10:11]
; %bb.1809:
	v_bfe_u32 v6, v3, 21, 1
	s_mov_b32 s12, 0x80fffff
	v_add3_u32 v6, v3, v6, s12
	v_lshrrev_b32_e32 v6, 21, v6
; %bb.1810:
	s_andn2_saveexec_b64 s[10:11], s[10:11]
; %bb.1811:
	s_mov_b32 s12, 0x43000000
	v_add_f32_e64 v6, |v3|, s12
; %bb.1812:
	s_or_b64 exec, exec, s[10:11]
                                        ; implicit-def: $vgpr7
.LBB8_1813:
	s_andn2_saveexec_b64 s[2:3], s[2:3]
; %bb.1814:
	s_mov_b32 s10, 0x7f800000
	v_mov_b32_e32 v6, 0x7c
	v_mov_b32_e32 v10, 0x7f
	v_cmp_lt_u32_e32 vcc, s10, v7
	v_cndmask_b32_e32 v6, v6, v10, vcc
; %bb.1815:
	s_or_b64 exec, exec, s[2:3]
	v_lshrrev_b32_e32 v3, 24, v3
	s_movk_i32 s2, 0x80
	v_and_or_b32 v3, v3, s2, v6
	global_store_byte v[0:1], v3, off
.LBB8_1816:
	s_mov_b64 s[2:3], 0
	s_mov_b64 s[10:11], -1
.LBB8_1817:
	s_andn2_b64 vcc, exec, s[2:3]
	s_mov_b64 s[2:3], 0
	s_cbranch_vccnz .LBB8_1824
; %bb.1818:
	v_mov_b32_e32 v3, 14
	v_cmp_gt_i16_sdwa s[2:3], v14, v3 src0_sel:BYTE_0 src1_sel:DWORD
	s_mov_b64 s[12:13], -1
	s_and_b64 vcc, exec, s[2:3]
	s_cbranch_vccz .LBB8_1822
; %bb.1819:
	v_mov_b32_e32 v3, 15
	v_cmp_eq_u16_sdwa s[2:3], v14, v3 src0_sel:BYTE_0 src1_sel:DWORD
	s_mov_b64 s[0:1], -1
	s_and_b64 vcc, exec, s[2:3]
	s_cbranch_vccz .LBB8_1821
; %bb.1820:
	v_cvt_f32_f64_e32 v3, v[4:5]
	v_bfe_u32 v6, v3, 16, 1
	s_movk_i32 s0, 0x7fff
	v_add3_u32 v6, v3, v6, s0
	v_lshrrev_b32_e32 v6, 16, v6
	v_mov_b32_e32 v7, 0x7fc0
	v_cmp_o_f32_e32 vcc, v3, v3
	v_cndmask_b32_e32 v3, v7, v6, vcc
	global_store_short v[0:1], v3, off
	s_mov_b64 s[0:1], 0
	s_mov_b64 s[10:11], -1
.LBB8_1821:
	s_mov_b64 s[12:13], 0
.LBB8_1822:
	s_mov_b64 s[2:3], 0
	s_and_b64 vcc, exec, s[12:13]
	s_cbranch_vccz .LBB8_1824
; %bb.1823:
	v_mov_b32_e32 v3, 11
	v_cmp_ne_u16_sdwa s[0:1], v14, v3 src0_sel:BYTE_0 src1_sel:DWORD
	s_mov_b64 s[2:3], -1
.LBB8_1824:
	s_and_b64 vcc, exec, s[0:1]
	s_cbranch_vccnz .LBB8_1880
; %bb.1825:
	s_andn2_b64 vcc, exec, s[2:3]
	s_cbranch_vccnz .LBB8_1827
.LBB8_1826:
	v_cmp_neq_f64_e32 vcc, 0, v[4:5]
	v_cndmask_b32_e64 v3, 0, 1, vcc
	s_mov_b64 s[10:11], -1
	global_store_byte v[0:1], v3, off
.LBB8_1827:
	s_mov_b64 s[0:1], 0
.LBB8_1828:
	s_and_b64 vcc, exec, s[0:1]
	s_cbranch_vccz .LBB8_1867
; %bb.1829:
	v_mov_b32_e32 v3, 5
	v_cmp_lt_i16_sdwa s[2:3], v14, v3 src0_sel:BYTE_0 src1_sel:DWORD
	s_mov_b64 s[0:1], -1
	s_and_b64 vcc, exec, s[2:3]
	s_cbranch_vccnz .LBB8_1850
; %bb.1830:
	v_mov_b32_e32 v3, 8
	v_cmp_lt_i16_sdwa s[2:3], v14, v3 src0_sel:BYTE_0 src1_sel:DWORD
	s_and_b64 vcc, exec, s[2:3]
	s_cbranch_vccnz .LBB8_1840
; %bb.1831:
	v_mov_b32_e32 v3, 9
	v_cmp_lt_i16_sdwa s[2:3], v14, v3 src0_sel:BYTE_0 src1_sel:DWORD
	s_and_b64 vcc, exec, s[2:3]
	s_cbranch_vccnz .LBB8_1837
; %bb.1832:
	v_cmp_gt_i16_sdwa s[2:3], v14, v3 src0_sel:BYTE_0 src1_sel:DWORD
	s_and_b64 vcc, exec, s[2:3]
	s_cbranch_vccz .LBB8_1834
; %bb.1833:
	v_mov_b32_e32 v6, 0
	v_mov_b32_e32 v7, v6
	global_store_dwordx4 v[0:1], v[4:7], off
	s_mov_b64 s[0:1], 0
.LBB8_1834:
	s_andn2_b64 vcc, exec, s[0:1]
	s_cbranch_vccnz .LBB8_1836
; %bb.1835:
	v_cvt_f32_f64_e32 v6, v[4:5]
	v_mov_b32_e32 v7, 0
	global_store_dwordx2 v[0:1], v[6:7], off
.LBB8_1836:
	s_mov_b64 s[0:1], 0
.LBB8_1837:
	s_andn2_b64 vcc, exec, s[0:1]
	s_cbranch_vccnz .LBB8_1839
; %bb.1838:
	v_cvt_f32_f64_e32 v3, v[4:5]
	v_cvt_f16_f32_e32 v3, v3
	global_store_dword v[0:1], v3, off
.LBB8_1839:
	s_mov_b64 s[0:1], 0
.LBB8_1840:
	s_andn2_b64 vcc, exec, s[0:1]
	s_cbranch_vccnz .LBB8_1849
; %bb.1841:
	v_mov_b32_e32 v3, 6
	v_cmp_lt_i16_sdwa s[2:3], v14, v3 src0_sel:BYTE_0 src1_sel:DWORD
	s_mov_b64 s[0:1], -1
	s_and_b64 vcc, exec, s[2:3]
	s_cbranch_vccnz .LBB8_1847
; %bb.1842:
	v_cmp_gt_i16_sdwa s[2:3], v14, v3 src0_sel:BYTE_0 src1_sel:DWORD
	s_and_b64 vcc, exec, s[2:3]
	s_cbranch_vccz .LBB8_1844
; %bb.1843:
	global_store_dwordx2 v[0:1], v[4:5], off
	s_mov_b64 s[0:1], 0
.LBB8_1844:
	s_andn2_b64 vcc, exec, s[0:1]
	s_cbranch_vccnz .LBB8_1846
; %bb.1845:
	v_cvt_f32_f64_e32 v3, v[4:5]
	global_store_dword v[0:1], v3, off
.LBB8_1846:
	s_mov_b64 s[0:1], 0
.LBB8_1847:
	s_andn2_b64 vcc, exec, s[0:1]
	s_cbranch_vccnz .LBB8_1849
; %bb.1848:
	v_cvt_f32_f64_e32 v3, v[4:5]
	v_cvt_f16_f32_e32 v3, v3
	global_store_short v[0:1], v3, off
.LBB8_1849:
	s_mov_b64 s[0:1], 0
.LBB8_1850:
	s_andn2_b64 vcc, exec, s[0:1]
	s_cbranch_vccnz .LBB8_1866
; %bb.1851:
	v_mov_b32_e32 v3, 2
	v_cmp_lt_i16_sdwa s[2:3], v14, v3 src0_sel:BYTE_0 src1_sel:DWORD
	s_mov_b64 s[0:1], -1
	s_and_b64 vcc, exec, s[2:3]
	s_cbranch_vccnz .LBB8_1861
; %bb.1852:
	v_mov_b32_e32 v3, 3
	v_cmp_lt_i16_sdwa s[2:3], v14, v3 src0_sel:BYTE_0 src1_sel:DWORD
	s_and_b64 vcc, exec, s[2:3]
	s_cbranch_vccnz .LBB8_1858
; %bb.1853:
	v_cmp_gt_i16_sdwa s[2:3], v14, v3 src0_sel:BYTE_0 src1_sel:DWORD
	s_and_b64 vcc, exec, s[2:3]
	s_cbranch_vccz .LBB8_1855
; %bb.1854:
	v_trunc_f64_e32 v[6:7], v[4:5]
	s_movk_i32 s0, 0xffe0
	v_ldexp_f64 v[10:11], v[6:7], s0
	v_floor_f64_e32 v[10:11], v[10:11]
	v_fmac_f64_e32 v[6:7], 0xc1f00000, v[10:11]
	v_cvt_i32_f64_e32 v17, v[10:11]
	v_cvt_u32_f64_e32 v16, v[6:7]
	global_store_dwordx2 v[0:1], v[16:17], off
	s_mov_b64 s[0:1], 0
.LBB8_1855:
	s_andn2_b64 vcc, exec, s[0:1]
	s_cbranch_vccnz .LBB8_1857
; %bb.1856:
	v_cvt_i32_f64_e32 v3, v[4:5]
	global_store_dword v[0:1], v3, off
.LBB8_1857:
	s_mov_b64 s[0:1], 0
.LBB8_1858:
	s_andn2_b64 vcc, exec, s[0:1]
	s_cbranch_vccnz .LBB8_1860
; %bb.1859:
	v_cvt_i32_f64_e32 v3, v[4:5]
	global_store_short v[0:1], v3, off
.LBB8_1860:
	s_mov_b64 s[0:1], 0
.LBB8_1861:
	s_andn2_b64 vcc, exec, s[0:1]
	s_cbranch_vccnz .LBB8_1866
; %bb.1862:
	v_mov_b32_e32 v3, 0
	v_cmp_gt_i16_sdwa s[2:3], v14, v3 src0_sel:BYTE_0 src1_sel:DWORD
	s_mov_b64 s[0:1], -1
	s_and_b64 vcc, exec, s[2:3]
	s_cbranch_vccz .LBB8_1864
; %bb.1863:
	v_cvt_i32_f64_e32 v3, v[4:5]
	global_store_byte v[0:1], v3, off
	s_mov_b64 s[0:1], 0
.LBB8_1864:
	s_andn2_b64 vcc, exec, s[0:1]
	s_cbranch_vccnz .LBB8_1866
; %bb.1865:
	v_trunc_f64_e32 v[4:5], v[4:5]
	s_movk_i32 s0, 0xffe0
	v_ldexp_f64 v[6:7], v[4:5], s0
	v_floor_f64_e32 v[6:7], v[6:7]
	v_fmac_f64_e32 v[4:5], 0xc1f00000, v[6:7]
	v_cvt_u32_f64_e32 v3, v[4:5]
	global_store_byte v[0:1], v3, off
.LBB8_1866:
	s_mov_b64 s[10:11], -1
.LBB8_1867:
	s_andn2_b64 vcc, exec, s[10:11]
	s_cbranch_vccnz .LBB8_2071
; %bb.1868:
	v_add_u32_e32 v2, s18, v2
	v_ashrrev_i32_e32 v1, 31, v2
	v_mov_b32_e32 v3, s9
	v_add_co_u32_e32 v0, vcc, s8, v2
	v_addc_co_u32_e32 v1, vcc, v3, v1, vcc
	v_mov_b32_e32 v3, 11
	v_cmp_lt_i16_sdwa s[0:1], v14, v3 src0_sel:BYTE_0 src1_sel:DWORD
	s_and_b64 vcc, exec, s[0:1]
	s_cbranch_vccnz .LBB8_1875
; %bb.1869:
	v_mov_b32_e32 v3, 25
	v_cmp_gt_i16_sdwa s[0:1], v14, v3 src0_sel:BYTE_0 src1_sel:DWORD
	s_mov_b64 s[12:13], -1
	s_mov_b64 s[2:3], 0
	s_and_b64 vcc, exec, s[0:1]
	s_mov_b64 s[10:11], 0
	s_mov_b64 s[0:1], 0
	s_cbranch_vccz .LBB8_1911
; %bb.1870:
	v_mov_b32_e32 v3, 28
	v_cmp_gt_i16_sdwa s[0:1], v14, v3 src0_sel:BYTE_0 src1_sel:DWORD
	s_and_b64 vcc, exec, s[0:1]
	s_cbranch_vccz .LBB8_1876
; %bb.1871:
	v_mov_b32_e32 v3, 43
	v_cmp_gt_i16_sdwa s[0:1], v14, v3 src0_sel:BYTE_0 src1_sel:DWORD
	s_and_b64 vcc, exec, s[0:1]
	;; [unrolled: 5-line block ×3, first 2 shown]
	s_cbranch_vccz .LBB8_1883
; %bb.1873:
	v_mov_b32_e32 v3, 46
	v_cmp_eq_u16_sdwa s[10:11], v14, v3 src0_sel:BYTE_0 src1_sel:DWORD
	s_mov_b64 s[0:1], -1
	s_mov_b64 s[12:13], 0
	s_and_b64 vcc, exec, s[10:11]
	s_mov_b64 s[10:11], 0
	s_cbranch_vccz .LBB8_1884
; %bb.1874:
	v_cvt_f32_f64_e32 v3, v[8:9]
	v_bfe_u32 v4, v3, 16, 1
	s_movk_i32 s0, 0x7fff
	v_add3_u32 v4, v3, v4, s0
	v_lshrrev_b32_e32 v4, 16, v4
	v_mov_b32_e32 v5, 0x7fc0
	v_cmp_o_f32_e32 vcc, v3, v3
	v_cndmask_b32_e32 v3, v5, v4, vcc
	global_store_dword v[0:1], v3, off
	s_mov_b64 s[0:1], 0
	s_mov_b64 s[10:11], -1
	s_branch .LBB8_1884
.LBB8_1875:
	s_mov_b64 s[0:1], -1
	s_mov_b64 s[10:11], 0
	s_branch .LBB8_1955
.LBB8_1876:
	s_mov_b64 s[0:1], 0
	s_branch .LBB8_1894
.LBB8_1877:
	s_or_saveexec_b64 s[16:17], s[16:17]
                                        ; implicit-def: $sgpr19
	s_xor_b64 exec, exec, s[16:17]
	s_cbranch_execz .LBB8_1778
.LBB8_1878:
	s_mov_b32 s19, 0x46000000
	v_add_f32_e64 v6, |v3|, s19
	v_and_b32_e32 v6, 0xff, v6
	v_cmp_ne_u32_e32 vcc, 0, v6
	s_andn2_b64 s[12:13], s[12:13], exec
	s_and_b64 s[20:21], vcc, exec
	s_mov_b32 s19, 0
	s_or_b64 s[12:13], s[12:13], s[20:21]
	s_or_b64 exec, exec, s[16:17]
	v_mov_b32_e32 v7, s19
	s_and_saveexec_b64 s[16:17], s[12:13]
	s_cbranch_execnz .LBB8_1779
	s_branch .LBB8_1780
.LBB8_1879:
	s_mov_b64 s[0:1], 0
	s_branch .LBB8_1890
.LBB8_1880:
	s_trap 2
	s_or_b64 s[14:15], s[14:15], exec
	s_cbranch_execz .LBB8_1826
	s_branch .LBB8_1827
.LBB8_1881:
	s_or_saveexec_b64 s[12:13], s[12:13]
                                        ; implicit-def: $sgpr16
	s_xor_b64 exec, exec, s[12:13]
	s_cbranch_execz .LBB8_1791
.LBB8_1882:
	s_mov_b32 s16, 0x42800000
	v_add_f32_e64 v6, |v3|, s16
	v_and_b32_e32 v6, 0xff, v6
	v_cmp_ne_u32_e32 vcc, 0, v6
	s_andn2_b64 s[10:11], s[10:11], exec
	s_and_b64 s[20:21], vcc, exec
	s_mov_b32 s16, 0
	s_or_b64 s[10:11], s[10:11], s[20:21]
	s_or_b64 exec, exec, s[12:13]
	v_mov_b32_e32 v7, s16
	s_and_saveexec_b64 s[12:13], s[10:11]
	s_cbranch_execnz .LBB8_1792
	s_branch .LBB8_1793
.LBB8_1883:
	s_mov_b64 s[0:1], 0
.LBB8_1884:
	s_and_b64 vcc, exec, s[12:13]
	s_cbranch_vccz .LBB8_1889
; %bb.1885:
	v_mov_b32_e32 v3, 44
	v_cmp_eq_u16_sdwa s[12:13], v14, v3 src0_sel:BYTE_0 src1_sel:DWORD
	s_mov_b64 s[0:1], -1
	s_and_b64 vcc, exec, s[12:13]
	s_cbranch_vccz .LBB8_1889
; %bb.1886:
	v_cvt_f32_f64_e32 v3, v[8:9]
	v_bfe_u32 v4, v3, 23, 8
	s_movk_i32 s0, 0xff
	v_cmp_ne_u32_e32 vcc, s0, v4
	v_mov_b32_e32 v5, 0xff
	s_and_saveexec_b64 s[10:11], vcc
; %bb.1887:
	s_mov_b32 s0, 0x3fffff
	v_lshrrev_b32_e32 v5, 23, v3
	v_and_b32_e32 v6, 0x400000, v3
	v_and_or_b32 v3, v3, s0, v4
	v_cmp_ne_u32_e32 vcc, 0, v6
	v_cmp_ne_u32_e64 s[0:1], 0, v3
	s_and_b64 s[0:1], vcc, s[0:1]
	v_cndmask_b32_e64 v3, 0, 1, s[0:1]
	v_add_u32_e32 v5, v5, v3
; %bb.1888:
	s_or_b64 exec, exec, s[10:11]
	s_mov_b64 s[0:1], 0
	s_mov_b64 s[10:11], -1
	global_store_byte v[0:1], v5, off
.LBB8_1889:
	s_mov_b64 s[12:13], 0
.LBB8_1890:
	s_and_b64 vcc, exec, s[12:13]
	s_cbranch_vccz .LBB8_1893
; %bb.1891:
	v_mov_b32_e32 v3, 29
	v_cmp_eq_u16_sdwa s[12:13], v14, v3 src0_sel:BYTE_0 src1_sel:DWORD
	s_mov_b64 s[0:1], -1
	s_and_b64 vcc, exec, s[12:13]
	s_cbranch_vccz .LBB8_1893
; %bb.1892:
	v_trunc_f64_e32 v[4:5], v[8:9]
	s_movk_i32 s0, 0xffe0
	v_ldexp_f64 v[6:7], v[4:5], s0
	v_floor_f64_e32 v[6:7], v[6:7]
	v_fmac_f64_e32 v[4:5], 0xc1f00000, v[6:7]
	v_cvt_u32_f64_e32 v11, v[6:7]
	v_cvt_u32_f64_e32 v10, v[4:5]
	global_store_dwordx2 v[0:1], v[10:11], off
	s_mov_b64 s[0:1], 0
	s_mov_b64 s[10:11], -1
.LBB8_1893:
	s_mov_b64 s[12:13], 0
.LBB8_1894:
	s_and_b64 vcc, exec, s[12:13]
	s_cbranch_vccz .LBB8_1910
; %bb.1895:
	v_mov_b32_e32 v3, 27
	v_cmp_lt_i16_sdwa s[12:13], v14, v3 src0_sel:BYTE_0 src1_sel:DWORD
	s_mov_b64 s[10:11], -1
	s_and_b64 vcc, exec, s[12:13]
	s_cbranch_vccnz .LBB8_1901
; %bb.1896:
	v_cmp_gt_i16_sdwa s[12:13], v14, v3 src0_sel:BYTE_0 src1_sel:DWORD
	s_and_b64 vcc, exec, s[12:13]
	v_cvt_u32_f64_e32 v3, v[8:9]
	s_cbranch_vccz .LBB8_1898
; %bb.1897:
	s_mov_b64 s[10:11], 0
	global_store_dword v[0:1], v3, off
.LBB8_1898:
	s_andn2_b64 vcc, exec, s[10:11]
	s_cbranch_vccnz .LBB8_1900
; %bb.1899:
	global_store_short v[0:1], v3, off
.LBB8_1900:
	s_mov_b64 s[10:11], 0
.LBB8_1901:
	s_andn2_b64 vcc, exec, s[10:11]
	s_cbranch_vccnz .LBB8_1909
; %bb.1902:
	v_cvt_f32_f64_e32 v3, v[8:9]
	v_and_b32_e32 v4, 0x7fffffff, v3
	s_mov_b32 s10, 0x43800000
	v_cmp_gt_u32_e32 vcc, s10, v4
	v_mov_b32_e32 v5, 0x80
	s_and_saveexec_b64 s[10:11], vcc
	s_cbranch_execz .LBB8_1908
; %bb.1903:
	s_mov_b32 s12, 0x3bffffff
	v_cmp_lt_u32_e32 vcc, s12, v4
	s_mov_b64 s[12:13], 0
                                        ; implicit-def: $vgpr4
	s_and_saveexec_b64 s[16:17], vcc
	s_xor_b64 s[16:17], exec, s[16:17]
	s_cbranch_execz .LBB8_2073
; %bb.1904:
	v_bfe_u32 v4, v3, 20, 1
	s_mov_b32 s19, 0x487ffff
	v_add3_u32 v4, v3, v4, s19
	s_mov_b64 s[12:13], exec
	v_lshrrev_b32_e32 v4, 20, v4
	s_or_saveexec_b64 s[16:17], s[16:17]
                                        ; implicit-def: $sgpr19
	s_xor_b64 exec, exec, s[16:17]
	s_cbranch_execnz .LBB8_2074
.LBB8_1905:
	s_or_b64 exec, exec, s[16:17]
	v_mov_b32_e32 v5, s19
	s_and_saveexec_b64 s[16:17], s[12:13]
.LBB8_1906:
	v_lshrrev_b32_e32 v3, 24, v3
	s_movk_i32 s12, 0x80
	v_and_or_b32 v5, v3, s12, v4
.LBB8_1907:
	s_or_b64 exec, exec, s[16:17]
.LBB8_1908:
	s_or_b64 exec, exec, s[10:11]
	global_store_byte v[0:1], v5, off
.LBB8_1909:
	s_mov_b64 s[10:11], -1
.LBB8_1910:
	s_mov_b64 s[12:13], 0
.LBB8_1911:
	s_and_b64 vcc, exec, s[12:13]
	s_cbranch_vccz .LBB8_1951
; %bb.1912:
	v_mov_b32_e32 v3, 22
	v_cmp_gt_i16_sdwa s[12:13], v14, v3 src0_sel:BYTE_0 src1_sel:DWORD
	s_mov_b64 s[2:3], -1
	s_and_b64 vcc, exec, s[12:13]
	s_cbranch_vccz .LBB8_1944
; %bb.1913:
	v_mov_b32_e32 v3, 24
	v_cmp_lt_i16_sdwa s[10:11], v14, v3 src0_sel:BYTE_0 src1_sel:DWORD
	s_and_b64 vcc, exec, s[10:11]
	s_cbranch_vccnz .LBB8_1933
; %bb.1914:
	v_cmp_gt_i16_sdwa s[10:11], v14, v3 src0_sel:BYTE_0 src1_sel:DWORD
	s_and_b64 vcc, exec, s[10:11]
	s_cbranch_vccz .LBB8_1922
; %bb.1915:
	v_cvt_f32_f64_e32 v3, v[8:9]
	v_and_b32_e32 v4, 0x7fffffff, v3
	s_mov_b32 s2, 0x47800000
	v_cmp_gt_u32_e32 vcc, s2, v4
	v_mov_b32_e32 v5, 0x80
	s_and_saveexec_b64 s[2:3], vcc
	s_cbranch_execz .LBB8_1921
; %bb.1916:
	s_mov_b32 s10, 0x37ffffff
	v_cmp_lt_u32_e32 vcc, s10, v4
	s_mov_b64 s[10:11], 0
                                        ; implicit-def: $vgpr4
	s_and_saveexec_b64 s[12:13], vcc
	s_xor_b64 s[12:13], exec, s[12:13]
	s_cbranch_execz .LBB8_2076
; %bb.1917:
	v_bfe_u32 v4, v3, 21, 1
	s_mov_b32 s16, 0x88fffff
	v_add3_u32 v4, v3, v4, s16
	s_mov_b64 s[10:11], exec
	v_lshrrev_b32_e32 v4, 21, v4
	s_or_saveexec_b64 s[12:13], s[12:13]
                                        ; implicit-def: $sgpr16
	s_xor_b64 exec, exec, s[12:13]
	s_cbranch_execnz .LBB8_2077
.LBB8_1918:
	s_or_b64 exec, exec, s[12:13]
	v_mov_b32_e32 v5, s16
	s_and_saveexec_b64 s[12:13], s[10:11]
.LBB8_1919:
	v_lshrrev_b32_e32 v3, 24, v3
	s_movk_i32 s10, 0x80
	v_and_or_b32 v5, v3, s10, v4
.LBB8_1920:
	s_or_b64 exec, exec, s[12:13]
.LBB8_1921:
	s_or_b64 exec, exec, s[2:3]
	s_mov_b64 s[2:3], 0
	global_store_byte v[0:1], v5, off
.LBB8_1922:
	s_and_b64 vcc, exec, s[2:3]
	s_cbranch_vccz .LBB8_1932
; %bb.1923:
	v_cvt_f32_f64_e32 v3, v[8:9]
	v_and_b32_e32 v5, 0x7fffffff, v3
	s_mov_b32 s2, 0x43f00000
	v_cmp_gt_u32_e32 vcc, s2, v5
                                        ; implicit-def: $vgpr4
	s_and_saveexec_b64 s[2:3], vcc
	s_xor_b64 s[2:3], exec, s[2:3]
	s_cbranch_execz .LBB8_1929
; %bb.1924:
	s_mov_b32 s10, 0x3c7fffff
	v_cmp_lt_u32_e32 vcc, s10, v5
                                        ; implicit-def: $vgpr4
	s_and_saveexec_b64 s[10:11], vcc
	s_xor_b64 s[10:11], exec, s[10:11]
; %bb.1925:
	v_bfe_u32 v4, v3, 20, 1
	s_mov_b32 s12, 0x407ffff
	v_add3_u32 v4, v3, v4, s12
	v_lshrrev_b32_e32 v5, 20, v4
	v_and_b32_e32 v4, 0xff00000, v4
	s_mov_b32 s12, 0x7f00000
	v_mov_b32_e32 v6, 0x7e
	v_cmp_ne_u32_e32 vcc, s12, v4
	v_cndmask_b32_e32 v4, v6, v5, vcc
; %bb.1926:
	s_andn2_saveexec_b64 s[10:11], s[10:11]
; %bb.1927:
	s_mov_b32 s12, 0x46800000
	v_add_f32_e64 v4, |v3|, s12
; %bb.1928:
	s_or_b64 exec, exec, s[10:11]
                                        ; implicit-def: $vgpr5
.LBB8_1929:
	s_andn2_saveexec_b64 s[2:3], s[2:3]
; %bb.1930:
	s_mov_b32 s10, 0x7f800000
	v_mov_b32_e32 v4, 0x7e
	v_mov_b32_e32 v6, 0x7f
	v_cmp_lt_u32_e32 vcc, s10, v5
	v_cndmask_b32_e32 v4, v4, v6, vcc
; %bb.1931:
	s_or_b64 exec, exec, s[2:3]
	v_lshrrev_b32_e32 v3, 24, v3
	s_movk_i32 s2, 0x80
	v_and_or_b32 v3, v3, s2, v4
	global_store_byte v[0:1], v3, off
.LBB8_1932:
	s_mov_b64 s[2:3], 0
.LBB8_1933:
	s_andn2_b64 vcc, exec, s[2:3]
	s_cbranch_vccnz .LBB8_1943
; %bb.1934:
	v_cvt_f32_f64_e32 v3, v[8:9]
	v_and_b32_e32 v5, 0x7fffffff, v3
	s_mov_b32 s2, 0x47800000
	v_cmp_gt_u32_e32 vcc, s2, v5
                                        ; implicit-def: $vgpr4
	s_and_saveexec_b64 s[2:3], vcc
	s_xor_b64 s[2:3], exec, s[2:3]
	s_cbranch_execz .LBB8_1940
; %bb.1935:
	s_mov_b32 s10, 0x387fffff
	v_cmp_lt_u32_e32 vcc, s10, v5
                                        ; implicit-def: $vgpr4
	s_and_saveexec_b64 s[10:11], vcc
	s_xor_b64 s[10:11], exec, s[10:11]
; %bb.1936:
	v_bfe_u32 v4, v3, 21, 1
	s_mov_b32 s12, 0x80fffff
	v_add3_u32 v4, v3, v4, s12
	v_lshrrev_b32_e32 v4, 21, v4
; %bb.1937:
	s_andn2_saveexec_b64 s[10:11], s[10:11]
; %bb.1938:
	s_mov_b32 s12, 0x43000000
	v_add_f32_e64 v4, |v3|, s12
; %bb.1939:
	s_or_b64 exec, exec, s[10:11]
                                        ; implicit-def: $vgpr5
.LBB8_1940:
	s_andn2_saveexec_b64 s[2:3], s[2:3]
; %bb.1941:
	s_mov_b32 s10, 0x7f800000
	v_mov_b32_e32 v4, 0x7c
	v_mov_b32_e32 v6, 0x7f
	v_cmp_lt_u32_e32 vcc, s10, v5
	v_cndmask_b32_e32 v4, v4, v6, vcc
; %bb.1942:
	s_or_b64 exec, exec, s[2:3]
	v_lshrrev_b32_e32 v3, 24, v3
	s_movk_i32 s2, 0x80
	v_and_or_b32 v3, v3, s2, v4
	global_store_byte v[0:1], v3, off
.LBB8_1943:
	s_mov_b64 s[2:3], 0
	s_mov_b64 s[10:11], -1
.LBB8_1944:
	s_andn2_b64 vcc, exec, s[2:3]
	s_mov_b64 s[2:3], 0
	s_cbranch_vccnz .LBB8_1951
; %bb.1945:
	v_mov_b32_e32 v3, 14
	v_cmp_gt_i16_sdwa s[2:3], v14, v3 src0_sel:BYTE_0 src1_sel:DWORD
	s_mov_b64 s[12:13], -1
	s_and_b64 vcc, exec, s[2:3]
	s_cbranch_vccz .LBB8_1949
; %bb.1946:
	v_mov_b32_e32 v3, 15
	v_cmp_eq_u16_sdwa s[2:3], v14, v3 src0_sel:BYTE_0 src1_sel:DWORD
	s_mov_b64 s[0:1], -1
	s_and_b64 vcc, exec, s[2:3]
	s_cbranch_vccz .LBB8_1948
; %bb.1947:
	v_cvt_f32_f64_e32 v3, v[8:9]
	v_bfe_u32 v4, v3, 16, 1
	s_movk_i32 s0, 0x7fff
	v_add3_u32 v4, v3, v4, s0
	v_lshrrev_b32_e32 v4, 16, v4
	v_mov_b32_e32 v5, 0x7fc0
	v_cmp_o_f32_e32 vcc, v3, v3
	v_cndmask_b32_e32 v3, v5, v4, vcc
	global_store_short v[0:1], v3, off
	s_mov_b64 s[0:1], 0
	s_mov_b64 s[10:11], -1
.LBB8_1948:
	s_mov_b64 s[12:13], 0
.LBB8_1949:
	s_mov_b64 s[2:3], 0
	s_and_b64 vcc, exec, s[12:13]
	s_cbranch_vccz .LBB8_1951
; %bb.1950:
	v_mov_b32_e32 v3, 11
	v_cmp_ne_u16_sdwa s[0:1], v14, v3 src0_sel:BYTE_0 src1_sel:DWORD
	s_mov_b64 s[2:3], -1
.LBB8_1951:
	s_and_b64 vcc, exec, s[0:1]
	s_cbranch_vccnz .LBB8_2075
; %bb.1952:
	s_andn2_b64 vcc, exec, s[2:3]
	s_cbranch_vccnz .LBB8_1954
.LBB8_1953:
	v_cmp_neq_f64_e32 vcc, 0, v[8:9]
	v_cndmask_b32_e64 v3, 0, 1, vcc
	s_mov_b64 s[10:11], -1
	global_store_byte v[0:1], v3, off
.LBB8_1954:
	s_mov_b64 s[0:1], 0
.LBB8_1955:
	s_and_b64 vcc, exec, s[0:1]
	s_cbranch_vccz .LBB8_1994
; %bb.1956:
	v_mov_b32_e32 v3, 5
	v_cmp_lt_i16_sdwa s[2:3], v14, v3 src0_sel:BYTE_0 src1_sel:DWORD
	s_mov_b64 s[0:1], -1
	s_and_b64 vcc, exec, s[2:3]
	s_cbranch_vccnz .LBB8_1977
; %bb.1957:
	v_mov_b32_e32 v3, 8
	v_cmp_lt_i16_sdwa s[2:3], v14, v3 src0_sel:BYTE_0 src1_sel:DWORD
	s_and_b64 vcc, exec, s[2:3]
	s_cbranch_vccnz .LBB8_1967
; %bb.1958:
	v_mov_b32_e32 v3, 9
	v_cmp_lt_i16_sdwa s[2:3], v14, v3 src0_sel:BYTE_0 src1_sel:DWORD
	s_and_b64 vcc, exec, s[2:3]
	s_cbranch_vccnz .LBB8_1964
; %bb.1959:
	v_cmp_gt_i16_sdwa s[2:3], v14, v3 src0_sel:BYTE_0 src1_sel:DWORD
	s_and_b64 vcc, exec, s[2:3]
	s_cbranch_vccz .LBB8_1961
; %bb.1960:
	v_mov_b32_e32 v10, 0
	v_mov_b32_e32 v11, v10
	global_store_dwordx4 v[0:1], v[8:11], off
	s_mov_b64 s[0:1], 0
.LBB8_1961:
	s_andn2_b64 vcc, exec, s[0:1]
	s_cbranch_vccnz .LBB8_1963
; %bb.1962:
	v_cvt_f32_f64_e32 v4, v[8:9]
	v_mov_b32_e32 v5, 0
	global_store_dwordx2 v[0:1], v[4:5], off
.LBB8_1963:
	s_mov_b64 s[0:1], 0
.LBB8_1964:
	s_andn2_b64 vcc, exec, s[0:1]
	s_cbranch_vccnz .LBB8_1966
; %bb.1965:
	v_cvt_f32_f64_e32 v3, v[8:9]
	v_cvt_f16_f32_e32 v3, v3
	global_store_dword v[0:1], v3, off
.LBB8_1966:
	s_mov_b64 s[0:1], 0
.LBB8_1967:
	s_andn2_b64 vcc, exec, s[0:1]
	s_cbranch_vccnz .LBB8_1976
; %bb.1968:
	v_mov_b32_e32 v3, 6
	v_cmp_lt_i16_sdwa s[2:3], v14, v3 src0_sel:BYTE_0 src1_sel:DWORD
	s_mov_b64 s[0:1], -1
	s_and_b64 vcc, exec, s[2:3]
	s_cbranch_vccnz .LBB8_1974
; %bb.1969:
	v_cmp_gt_i16_sdwa s[2:3], v14, v3 src0_sel:BYTE_0 src1_sel:DWORD
	s_and_b64 vcc, exec, s[2:3]
	s_cbranch_vccz .LBB8_1971
; %bb.1970:
	global_store_dwordx2 v[0:1], v[8:9], off
	s_mov_b64 s[0:1], 0
.LBB8_1971:
	s_andn2_b64 vcc, exec, s[0:1]
	s_cbranch_vccnz .LBB8_1973
; %bb.1972:
	v_cvt_f32_f64_e32 v3, v[8:9]
	global_store_dword v[0:1], v3, off
.LBB8_1973:
	s_mov_b64 s[0:1], 0
.LBB8_1974:
	s_andn2_b64 vcc, exec, s[0:1]
	s_cbranch_vccnz .LBB8_1976
; %bb.1975:
	v_cvt_f32_f64_e32 v3, v[8:9]
	v_cvt_f16_f32_e32 v3, v3
	global_store_short v[0:1], v3, off
.LBB8_1976:
	s_mov_b64 s[0:1], 0
.LBB8_1977:
	s_andn2_b64 vcc, exec, s[0:1]
	s_cbranch_vccnz .LBB8_1993
; %bb.1978:
	v_mov_b32_e32 v3, 2
	v_cmp_lt_i16_sdwa s[2:3], v14, v3 src0_sel:BYTE_0 src1_sel:DWORD
	s_mov_b64 s[0:1], -1
	s_and_b64 vcc, exec, s[2:3]
	s_cbranch_vccnz .LBB8_1988
; %bb.1979:
	v_mov_b32_e32 v3, 3
	v_cmp_lt_i16_sdwa s[2:3], v14, v3 src0_sel:BYTE_0 src1_sel:DWORD
	s_and_b64 vcc, exec, s[2:3]
	s_cbranch_vccnz .LBB8_1985
; %bb.1980:
	v_cmp_gt_i16_sdwa s[2:3], v14, v3 src0_sel:BYTE_0 src1_sel:DWORD
	s_and_b64 vcc, exec, s[2:3]
	s_cbranch_vccz .LBB8_1982
; %bb.1981:
	v_trunc_f64_e32 v[4:5], v[8:9]
	s_movk_i32 s0, 0xffe0
	v_ldexp_f64 v[6:7], v[4:5], s0
	v_floor_f64_e32 v[6:7], v[6:7]
	v_fmac_f64_e32 v[4:5], 0xc1f00000, v[6:7]
	v_cvt_i32_f64_e32 v11, v[6:7]
	v_cvt_u32_f64_e32 v10, v[4:5]
	global_store_dwordx2 v[0:1], v[10:11], off
	s_mov_b64 s[0:1], 0
.LBB8_1982:
	s_andn2_b64 vcc, exec, s[0:1]
	s_cbranch_vccnz .LBB8_1984
; %bb.1983:
	v_cvt_i32_f64_e32 v3, v[8:9]
	global_store_dword v[0:1], v3, off
.LBB8_1984:
	s_mov_b64 s[0:1], 0
.LBB8_1985:
	s_andn2_b64 vcc, exec, s[0:1]
	s_cbranch_vccnz .LBB8_1987
; %bb.1986:
	v_cvt_i32_f64_e32 v3, v[8:9]
	global_store_short v[0:1], v3, off
.LBB8_1987:
	s_mov_b64 s[0:1], 0
.LBB8_1988:
	s_andn2_b64 vcc, exec, s[0:1]
	s_cbranch_vccnz .LBB8_1993
; %bb.1989:
	v_mov_b32_e32 v3, 0
	v_cmp_gt_i16_sdwa s[2:3], v14, v3 src0_sel:BYTE_0 src1_sel:DWORD
	s_mov_b64 s[0:1], -1
	s_and_b64 vcc, exec, s[2:3]
	s_cbranch_vccz .LBB8_1991
; %bb.1990:
	v_cvt_i32_f64_e32 v3, v[8:9]
	global_store_byte v[0:1], v3, off
	s_mov_b64 s[0:1], 0
.LBB8_1991:
	s_andn2_b64 vcc, exec, s[0:1]
	s_cbranch_vccnz .LBB8_1993
; %bb.1992:
	v_trunc_f64_e32 v[4:5], v[8:9]
	s_movk_i32 s0, 0xffe0
	v_ldexp_f64 v[6:7], v[4:5], s0
	v_floor_f64_e32 v[6:7], v[6:7]
	v_fmac_f64_e32 v[4:5], 0xc1f00000, v[6:7]
	v_cvt_u32_f64_e32 v3, v[4:5]
	global_store_byte v[0:1], v3, off
.LBB8_1993:
	s_mov_b64 s[10:11], -1
.LBB8_1994:
	s_andn2_b64 vcc, exec, s[10:11]
	s_cbranch_vccnz .LBB8_2071
; %bb.1995:
	v_add_u32_e32 v0, s18, v2
	v_ashrrev_i32_e32 v1, 31, v0
	v_mov_b32_e32 v2, s9
	v_add_co_u32_e32 v0, vcc, s8, v0
	v_addc_co_u32_e32 v1, vcc, v2, v1, vcc
	v_and_b32_e32 v2, 0xff, v14
	v_cmp_gt_i16_e32 vcc, 11, v2
	s_cbranch_vccnz .LBB8_2072
; %bb.1996:
	v_cmp_lt_i16_e32 vcc, 25, v2
	s_mov_b64 s[8:9], -1
	s_mov_b64 s[2:3], 0
	s_mov_b64 s[0:1], 0
	s_cbranch_vccz .LBB8_2029
; %bb.1997:
	v_cmp_lt_i16_e32 vcc, 28, v2
	s_cbranch_vccz .LBB8_2013
; %bb.1998:
	v_cmp_lt_i16_e32 vcc, 43, v2
	;; [unrolled: 3-line block ×3, first 2 shown]
	s_cbranch_vccz .LBB8_2003
; %bb.2000:
	v_cmp_eq_u16_e32 vcc, 46, v2
	s_mov_b64 s[0:1], -1
	s_cbranch_vccz .LBB8_2002
; %bb.2001:
	v_cvt_f32_f64_e32 v3, v[12:13]
	v_bfe_u32 v4, v3, 16, 1
	s_movk_i32 s0, 0x7fff
	v_add3_u32 v4, v3, v4, s0
	v_lshrrev_b32_e32 v4, 16, v4
	v_mov_b32_e32 v5, 0x7fc0
	v_cmp_o_f32_e32 vcc, v3, v3
	v_cndmask_b32_e32 v3, v5, v4, vcc
	global_store_dword v[0:1], v3, off
	s_mov_b64 s[0:1], 0
.LBB8_2002:
	s_mov_b64 s[8:9], 0
.LBB8_2003:
	s_and_b64 vcc, exec, s[8:9]
	s_cbranch_vccz .LBB8_2008
; %bb.2004:
	v_cmp_eq_u16_e32 vcc, 44, v2
	s_mov_b64 s[0:1], -1
	s_cbranch_vccz .LBB8_2008
; %bb.2005:
	v_cvt_f32_f64_e32 v3, v[12:13]
	v_bfe_u32 v4, v3, 23, 8
	s_movk_i32 s0, 0xff
	v_cmp_ne_u32_e32 vcc, s0, v4
	v_mov_b32_e32 v5, 0xff
	s_and_saveexec_b64 s[8:9], vcc
; %bb.2006:
	s_mov_b32 s0, 0x3fffff
	v_lshrrev_b32_e32 v5, 23, v3
	v_and_b32_e32 v6, 0x400000, v3
	v_and_or_b32 v3, v3, s0, v4
	v_cmp_ne_u32_e32 vcc, 0, v6
	v_cmp_ne_u32_e64 s[0:1], 0, v3
	s_and_b64 s[0:1], vcc, s[0:1]
	v_cndmask_b32_e64 v3, 0, 1, s[0:1]
	v_add_u32_e32 v5, v5, v3
; %bb.2007:
	s_or_b64 exec, exec, s[8:9]
	s_mov_b64 s[0:1], 0
	global_store_byte v[0:1], v5, off
.LBB8_2008:
	s_mov_b64 s[8:9], 0
.LBB8_2009:
	s_and_b64 vcc, exec, s[8:9]
	s_cbranch_vccz .LBB8_2012
; %bb.2010:
	v_cmp_eq_u16_e32 vcc, 29, v2
	s_mov_b64 s[0:1], -1
	s_cbranch_vccz .LBB8_2012
; %bb.2011:
	v_trunc_f64_e32 v[4:5], v[12:13]
	s_movk_i32 s0, 0xffe0
	v_ldexp_f64 v[6:7], v[4:5], s0
	v_floor_f64_e32 v[6:7], v[6:7]
	v_fmac_f64_e32 v[4:5], 0xc1f00000, v[6:7]
	v_cvt_u32_f64_e32 v9, v[6:7]
	v_cvt_u32_f64_e32 v8, v[4:5]
	global_store_dwordx2 v[0:1], v[8:9], off
	s_mov_b64 s[0:1], 0
.LBB8_2012:
	s_mov_b64 s[8:9], 0
.LBB8_2013:
	s_and_b64 vcc, exec, s[8:9]
	s_cbranch_vccz .LBB8_2028
; %bb.2014:
	v_cmp_gt_i16_e32 vcc, 27, v2
	s_mov_b64 s[8:9], -1
	s_cbranch_vccnz .LBB8_2020
; %bb.2015:
	v_cmp_lt_i16_e32 vcc, 27, v2
	v_cvt_u32_f64_e32 v3, v[12:13]
	s_cbranch_vccz .LBB8_2017
; %bb.2016:
	global_store_dword v[0:1], v3, off
	s_mov_b64 s[8:9], 0
.LBB8_2017:
	s_andn2_b64 vcc, exec, s[8:9]
	s_cbranch_vccnz .LBB8_2019
; %bb.2018:
	global_store_short v[0:1], v3, off
.LBB8_2019:
	s_mov_b64 s[8:9], 0
.LBB8_2020:
	s_andn2_b64 vcc, exec, s[8:9]
	s_cbranch_vccnz .LBB8_2028
; %bb.2021:
	v_cvt_f32_f64_e32 v3, v[12:13]
	v_and_b32_e32 v4, 0x7fffffff, v3
	s_mov_b32 s8, 0x43800000
	v_cmp_gt_u32_e32 vcc, s8, v4
	v_mov_b32_e32 v5, 0x80
	s_and_saveexec_b64 s[8:9], vcc
	s_cbranch_execz .LBB8_2027
; %bb.2022:
	s_mov_b32 s10, 0x3bffffff
	v_cmp_lt_u32_e32 vcc, s10, v4
	s_mov_b64 s[10:11], 0
                                        ; implicit-def: $vgpr4
	s_and_saveexec_b64 s[12:13], vcc
	s_xor_b64 s[12:13], exec, s[12:13]
	s_cbranch_execz .LBB8_2078
; %bb.2023:
	v_bfe_u32 v4, v3, 20, 1
	s_mov_b32 s16, 0x487ffff
	v_add3_u32 v4, v3, v4, s16
	s_mov_b64 s[10:11], exec
	v_lshrrev_b32_e32 v4, 20, v4
	s_or_saveexec_b64 s[12:13], s[12:13]
                                        ; implicit-def: $sgpr16
	s_xor_b64 exec, exec, s[12:13]
	s_cbranch_execnz .LBB8_2079
.LBB8_2024:
	s_or_b64 exec, exec, s[12:13]
	v_mov_b32_e32 v5, s16
	s_and_saveexec_b64 s[12:13], s[10:11]
.LBB8_2025:
	v_lshrrev_b32_e32 v3, 24, v3
	s_movk_i32 s10, 0x80
	v_and_or_b32 v5, v3, s10, v4
.LBB8_2026:
	s_or_b64 exec, exec, s[12:13]
.LBB8_2027:
	s_or_b64 exec, exec, s[8:9]
	global_store_byte v[0:1], v5, off
.LBB8_2028:
	s_mov_b64 s[8:9], 0
.LBB8_2029:
	s_and_b64 vcc, exec, s[8:9]
	s_cbranch_vccz .LBB8_2069
; %bb.2030:
	v_cmp_lt_i16_e32 vcc, 22, v2
	s_mov_b64 s[2:3], -1
	s_cbranch_vccz .LBB8_2062
; %bb.2031:
	v_cmp_gt_i16_e32 vcc, 24, v2
	s_cbranch_vccnz .LBB8_2051
; %bb.2032:
	v_cmp_lt_i16_e32 vcc, 24, v2
	s_cbranch_vccz .LBB8_2040
; %bb.2033:
	v_cvt_f32_f64_e32 v3, v[12:13]
	v_and_b32_e32 v4, 0x7fffffff, v3
	s_mov_b32 s2, 0x47800000
	v_cmp_gt_u32_e32 vcc, s2, v4
	v_mov_b32_e32 v5, 0x80
	s_and_saveexec_b64 s[2:3], vcc
	s_cbranch_execz .LBB8_2039
; %bb.2034:
	s_mov_b32 s8, 0x37ffffff
	v_cmp_lt_u32_e32 vcc, s8, v4
	s_mov_b64 s[8:9], 0
                                        ; implicit-def: $vgpr4
	s_and_saveexec_b64 s[10:11], vcc
	s_xor_b64 s[10:11], exec, s[10:11]
	s_cbranch_execz .LBB8_2081
; %bb.2035:
	v_bfe_u32 v4, v3, 21, 1
	s_mov_b32 s12, 0x88fffff
	v_add3_u32 v4, v3, v4, s12
	s_mov_b64 s[8:9], exec
	v_lshrrev_b32_e32 v4, 21, v4
	s_or_saveexec_b64 s[10:11], s[10:11]
                                        ; implicit-def: $sgpr12
	s_xor_b64 exec, exec, s[10:11]
	s_cbranch_execnz .LBB8_2082
.LBB8_2036:
	s_or_b64 exec, exec, s[10:11]
	v_mov_b32_e32 v5, s12
	s_and_saveexec_b64 s[10:11], s[8:9]
.LBB8_2037:
	v_lshrrev_b32_e32 v3, 24, v3
	s_movk_i32 s8, 0x80
	v_and_or_b32 v5, v3, s8, v4
.LBB8_2038:
	s_or_b64 exec, exec, s[10:11]
.LBB8_2039:
	s_or_b64 exec, exec, s[2:3]
	s_mov_b64 s[2:3], 0
	global_store_byte v[0:1], v5, off
.LBB8_2040:
	s_and_b64 vcc, exec, s[2:3]
	s_cbranch_vccz .LBB8_2050
; %bb.2041:
	v_cvt_f32_f64_e32 v3, v[12:13]
	v_and_b32_e32 v5, 0x7fffffff, v3
	s_mov_b32 s2, 0x43f00000
	v_cmp_gt_u32_e32 vcc, s2, v5
                                        ; implicit-def: $vgpr4
	s_and_saveexec_b64 s[2:3], vcc
	s_xor_b64 s[2:3], exec, s[2:3]
	s_cbranch_execz .LBB8_2047
; %bb.2042:
	s_mov_b32 s8, 0x3c7fffff
	v_cmp_lt_u32_e32 vcc, s8, v5
                                        ; implicit-def: $vgpr4
	s_and_saveexec_b64 s[8:9], vcc
	s_xor_b64 s[8:9], exec, s[8:9]
; %bb.2043:
	v_bfe_u32 v4, v3, 20, 1
	s_mov_b32 s10, 0x407ffff
	v_add3_u32 v4, v3, v4, s10
	v_lshrrev_b32_e32 v5, 20, v4
	v_and_b32_e32 v4, 0xff00000, v4
	s_mov_b32 s10, 0x7f00000
	v_mov_b32_e32 v6, 0x7e
	v_cmp_ne_u32_e32 vcc, s10, v4
	v_cndmask_b32_e32 v4, v6, v5, vcc
; %bb.2044:
	s_andn2_saveexec_b64 s[8:9], s[8:9]
; %bb.2045:
	s_mov_b32 s10, 0x46800000
	v_add_f32_e64 v4, |v3|, s10
; %bb.2046:
	s_or_b64 exec, exec, s[8:9]
                                        ; implicit-def: $vgpr5
.LBB8_2047:
	s_andn2_saveexec_b64 s[2:3], s[2:3]
; %bb.2048:
	s_mov_b32 s8, 0x7f800000
	v_mov_b32_e32 v4, 0x7e
	v_mov_b32_e32 v6, 0x7f
	v_cmp_lt_u32_e32 vcc, s8, v5
	v_cndmask_b32_e32 v4, v4, v6, vcc
; %bb.2049:
	s_or_b64 exec, exec, s[2:3]
	v_lshrrev_b32_e32 v3, 24, v3
	s_movk_i32 s2, 0x80
	v_and_or_b32 v3, v3, s2, v4
	global_store_byte v[0:1], v3, off
.LBB8_2050:
	s_mov_b64 s[2:3], 0
.LBB8_2051:
	s_andn2_b64 vcc, exec, s[2:3]
	s_cbranch_vccnz .LBB8_2061
; %bb.2052:
	v_cvt_f32_f64_e32 v3, v[12:13]
	v_and_b32_e32 v5, 0x7fffffff, v3
	s_mov_b32 s2, 0x47800000
	v_cmp_gt_u32_e32 vcc, s2, v5
                                        ; implicit-def: $vgpr4
	s_and_saveexec_b64 s[2:3], vcc
	s_xor_b64 s[2:3], exec, s[2:3]
	s_cbranch_execz .LBB8_2058
; %bb.2053:
	s_mov_b32 s8, 0x387fffff
	v_cmp_lt_u32_e32 vcc, s8, v5
                                        ; implicit-def: $vgpr4
	s_and_saveexec_b64 s[8:9], vcc
	s_xor_b64 s[8:9], exec, s[8:9]
; %bb.2054:
	v_bfe_u32 v4, v3, 21, 1
	s_mov_b32 s10, 0x80fffff
	v_add3_u32 v4, v3, v4, s10
	v_lshrrev_b32_e32 v4, 21, v4
; %bb.2055:
	s_andn2_saveexec_b64 s[8:9], s[8:9]
; %bb.2056:
	s_mov_b32 s10, 0x43000000
	v_add_f32_e64 v4, |v3|, s10
; %bb.2057:
	s_or_b64 exec, exec, s[8:9]
                                        ; implicit-def: $vgpr5
.LBB8_2058:
	s_andn2_saveexec_b64 s[2:3], s[2:3]
; %bb.2059:
	s_mov_b32 s8, 0x7f800000
	v_mov_b32_e32 v4, 0x7c
	v_mov_b32_e32 v6, 0x7f
	v_cmp_lt_u32_e32 vcc, s8, v5
	v_cndmask_b32_e32 v4, v4, v6, vcc
; %bb.2060:
	s_or_b64 exec, exec, s[2:3]
	v_lshrrev_b32_e32 v3, 24, v3
	s_movk_i32 s2, 0x80
	v_and_or_b32 v3, v3, s2, v4
	global_store_byte v[0:1], v3, off
.LBB8_2061:
	s_mov_b64 s[2:3], 0
.LBB8_2062:
	s_andn2_b64 vcc, exec, s[2:3]
	s_mov_b64 s[2:3], 0
	s_cbranch_vccnz .LBB8_2069
; %bb.2063:
	v_cmp_lt_i16_e32 vcc, 14, v2
	s_mov_b64 s[8:9], -1
	s_cbranch_vccz .LBB8_2067
; %bb.2064:
	v_cmp_eq_u16_e32 vcc, 15, v2
	s_mov_b64 s[0:1], -1
	s_cbranch_vccz .LBB8_2066
; %bb.2065:
	v_cvt_f32_f64_e32 v3, v[12:13]
	v_bfe_u32 v4, v3, 16, 1
	s_movk_i32 s0, 0x7fff
	v_add3_u32 v4, v3, v4, s0
	v_lshrrev_b32_e32 v4, 16, v4
	v_mov_b32_e32 v5, 0x7fc0
	v_cmp_o_f32_e32 vcc, v3, v3
	v_cndmask_b32_e32 v3, v5, v4, vcc
	global_store_short v[0:1], v3, off
	s_mov_b64 s[0:1], 0
.LBB8_2066:
	s_mov_b64 s[8:9], 0
.LBB8_2067:
	s_and_b64 vcc, exec, s[8:9]
	s_cbranch_vccz .LBB8_2069
; %bb.2068:
	v_cmp_ne_u16_e64 s[0:1], 11, v2
	s_mov_b64 s[2:3], -1
.LBB8_2069:
	s_and_b64 vcc, exec, s[0:1]
	s_cbranch_vccnz .LBB8_2080
.LBB8_2070:
	s_mov_b64 s[0:1], 0
	s_branch .LBB8_1581
.LBB8_2071:
	s_mov_b64 s[0:1], 0
                                        ; implicit-def: $vgpr2
                                        ; implicit-def: $vgpr0_vgpr1
	s_branch .LBB8_1580
.LBB8_2072:
	s_mov_b64 s[2:3], 0
	s_mov_b64 s[0:1], -1
	s_branch .LBB8_1581
.LBB8_2073:
	s_or_saveexec_b64 s[16:17], s[16:17]
                                        ; implicit-def: $sgpr19
	s_xor_b64 exec, exec, s[16:17]
	s_cbranch_execz .LBB8_1905
.LBB8_2074:
	s_mov_b32 s19, 0x46000000
	v_add_f32_e64 v4, |v3|, s19
	v_and_b32_e32 v4, 0xff, v4
	v_cmp_ne_u32_e32 vcc, 0, v4
	s_andn2_b64 s[12:13], s[12:13], exec
	s_and_b64 s[20:21], vcc, exec
	s_mov_b32 s19, 0
	s_or_b64 s[12:13], s[12:13], s[20:21]
	s_or_b64 exec, exec, s[16:17]
	v_mov_b32_e32 v5, s19
	s_and_saveexec_b64 s[16:17], s[12:13]
	s_cbranch_execnz .LBB8_1906
	s_branch .LBB8_1907
.LBB8_2075:
	s_trap 2
	s_or_b64 s[14:15], s[14:15], exec
	s_cbranch_execz .LBB8_1953
	s_branch .LBB8_1954
.LBB8_2076:
	s_or_saveexec_b64 s[12:13], s[12:13]
                                        ; implicit-def: $sgpr16
	s_xor_b64 exec, exec, s[12:13]
	s_cbranch_execz .LBB8_1918
.LBB8_2077:
	s_mov_b32 s16, 0x42800000
	v_add_f32_e64 v4, |v3|, s16
	v_and_b32_e32 v4, 0xff, v4
	v_cmp_ne_u32_e32 vcc, 0, v4
	s_andn2_b64 s[10:11], s[10:11], exec
	s_and_b64 s[20:21], vcc, exec
	s_mov_b32 s16, 0
	s_or_b64 s[10:11], s[10:11], s[20:21]
	s_or_b64 exec, exec, s[12:13]
	v_mov_b32_e32 v5, s16
	s_and_saveexec_b64 s[12:13], s[10:11]
	s_cbranch_execnz .LBB8_1919
	s_branch .LBB8_1920
.LBB8_2078:
	s_or_saveexec_b64 s[12:13], s[12:13]
                                        ; implicit-def: $sgpr16
	s_xor_b64 exec, exec, s[12:13]
	s_cbranch_execz .LBB8_2024
.LBB8_2079:
	s_mov_b32 s16, 0x46000000
	v_add_f32_e64 v4, |v3|, s16
	v_and_b32_e32 v4, 0xff, v4
	v_cmp_ne_u32_e32 vcc, 0, v4
	s_andn2_b64 s[10:11], s[10:11], exec
	s_and_b64 s[18:19], vcc, exec
	s_mov_b32 s16, 0
	s_or_b64 s[10:11], s[10:11], s[18:19]
	s_or_b64 exec, exec, s[12:13]
	v_mov_b32_e32 v5, s16
	s_and_saveexec_b64 s[12:13], s[10:11]
	s_cbranch_execnz .LBB8_2025
	s_branch .LBB8_2026
.LBB8_2080:
	s_mov_b64 s[2:3], 0
	s_or_b64 s[14:15], s[14:15], exec
	s_trap 2
	s_branch .LBB8_2070
.LBB8_2081:
	s_or_saveexec_b64 s[10:11], s[10:11]
                                        ; implicit-def: $sgpr12
	s_xor_b64 exec, exec, s[10:11]
	s_cbranch_execz .LBB8_2036
.LBB8_2082:
	s_mov_b32 s12, 0x42800000
	v_add_f32_e64 v4, |v3|, s12
	v_and_b32_e32 v4, 0xff, v4
	v_cmp_ne_u32_e32 vcc, 0, v4
	s_andn2_b64 s[8:9], s[8:9], exec
	s_and_b64 s[16:17], vcc, exec
	s_mov_b32 s12, 0
	s_or_b64 s[8:9], s[8:9], s[16:17]
	s_or_b64 exec, exec, s[10:11]
	v_mov_b32_e32 v5, s12
	s_and_saveexec_b64 s[10:11], s[8:9]
	s_cbranch_execnz .LBB8_2037
	s_branch .LBB8_2038
	.section	.rodata,"a",@progbits
	.p2align	6, 0x0
	.amdhsa_kernel _ZN2at6native32elementwise_kernel_manual_unrollILi128ELi4EZNS0_15gpu_kernel_implIZZZNS0_12_GLOBAL__N_130modified_bessel_i0_kernel_cudaERNS_18TensorIteratorBaseEENKUlvE_clEvENKUlvE_clEvEUldE_EEvS5_RKT_EUlibE_EEviT1_
		.amdhsa_group_segment_fixed_size 0
		.amdhsa_private_segment_fixed_size 0
		.amdhsa_kernarg_size 40
		.amdhsa_user_sgpr_count 6
		.amdhsa_user_sgpr_private_segment_buffer 1
		.amdhsa_user_sgpr_dispatch_ptr 0
		.amdhsa_user_sgpr_queue_ptr 0
		.amdhsa_user_sgpr_kernarg_segment_ptr 1
		.amdhsa_user_sgpr_dispatch_id 0
		.amdhsa_user_sgpr_flat_scratch_init 0
		.amdhsa_user_sgpr_kernarg_preload_length 0
		.amdhsa_user_sgpr_kernarg_preload_offset 0
		.amdhsa_user_sgpr_private_segment_size 0
		.amdhsa_uses_dynamic_stack 0
		.amdhsa_system_sgpr_private_segment_wavefront_offset 0
		.amdhsa_system_sgpr_workgroup_id_x 1
		.amdhsa_system_sgpr_workgroup_id_y 0
		.amdhsa_system_sgpr_workgroup_id_z 0
		.amdhsa_system_sgpr_workgroup_info 0
		.amdhsa_system_vgpr_workitem_id 0
		.amdhsa_next_free_vgpr 24
		.amdhsa_next_free_sgpr 44
		.amdhsa_accum_offset 24
		.amdhsa_reserve_vcc 1
		.amdhsa_reserve_flat_scratch 0
		.amdhsa_float_round_mode_32 0
		.amdhsa_float_round_mode_16_64 0
		.amdhsa_float_denorm_mode_32 3
		.amdhsa_float_denorm_mode_16_64 3
		.amdhsa_dx10_clamp 1
		.amdhsa_ieee_mode 1
		.amdhsa_fp16_overflow 0
		.amdhsa_tg_split 0
		.amdhsa_exception_fp_ieee_invalid_op 0
		.amdhsa_exception_fp_denorm_src 0
		.amdhsa_exception_fp_ieee_div_zero 0
		.amdhsa_exception_fp_ieee_overflow 0
		.amdhsa_exception_fp_ieee_underflow 0
		.amdhsa_exception_fp_ieee_inexact 0
		.amdhsa_exception_int_div_zero 0
	.end_amdhsa_kernel
	.section	.text._ZN2at6native32elementwise_kernel_manual_unrollILi128ELi4EZNS0_15gpu_kernel_implIZZZNS0_12_GLOBAL__N_130modified_bessel_i0_kernel_cudaERNS_18TensorIteratorBaseEENKUlvE_clEvENKUlvE_clEvEUldE_EEvS5_RKT_EUlibE_EEviT1_,"axG",@progbits,_ZN2at6native32elementwise_kernel_manual_unrollILi128ELi4EZNS0_15gpu_kernel_implIZZZNS0_12_GLOBAL__N_130modified_bessel_i0_kernel_cudaERNS_18TensorIteratorBaseEENKUlvE_clEvENKUlvE_clEvEUldE_EEvS5_RKT_EUlibE_EEviT1_,comdat
.Lfunc_end8:
	.size	_ZN2at6native32elementwise_kernel_manual_unrollILi128ELi4EZNS0_15gpu_kernel_implIZZZNS0_12_GLOBAL__N_130modified_bessel_i0_kernel_cudaERNS_18TensorIteratorBaseEENKUlvE_clEvENKUlvE_clEvEUldE_EEvS5_RKT_EUlibE_EEviT1_, .Lfunc_end8-_ZN2at6native32elementwise_kernel_manual_unrollILi128ELi4EZNS0_15gpu_kernel_implIZZZNS0_12_GLOBAL__N_130modified_bessel_i0_kernel_cudaERNS_18TensorIteratorBaseEENKUlvE_clEvENKUlvE_clEvEUldE_EEvS5_RKT_EUlibE_EEviT1_
                                        ; -- End function
	.section	.AMDGPU.csdata,"",@progbits
; Kernel info:
; codeLenInByte = 56536
; NumSgprs: 48
; NumVgprs: 24
; NumAgprs: 0
; TotalNumVgprs: 24
; ScratchSize: 0
; MemoryBound: 1
; FloatMode: 240
; IeeeMode: 1
; LDSByteSize: 0 bytes/workgroup (compile time only)
; SGPRBlocks: 5
; VGPRBlocks: 2
; NumSGPRsForWavesPerEU: 48
; NumVGPRsForWavesPerEU: 24
; AccumOffset: 24
; Occupancy: 8
; WaveLimiterHint : 0
; COMPUTE_PGM_RSRC2:SCRATCH_EN: 0
; COMPUTE_PGM_RSRC2:USER_SGPR: 6
; COMPUTE_PGM_RSRC2:TRAP_HANDLER: 0
; COMPUTE_PGM_RSRC2:TGID_X_EN: 1
; COMPUTE_PGM_RSRC2:TGID_Y_EN: 0
; COMPUTE_PGM_RSRC2:TGID_Z_EN: 0
; COMPUTE_PGM_RSRC2:TIDIG_COMP_CNT: 0
; COMPUTE_PGM_RSRC3_GFX90A:ACCUM_OFFSET: 5
; COMPUTE_PGM_RSRC3_GFX90A:TG_SPLIT: 0
	.section	.text._ZN2at6native32elementwise_kernel_manual_unrollILi128ELi4EZNS0_15gpu_kernel_implIZZZNS0_12_GLOBAL__N_130modified_bessel_i0_kernel_cudaERNS_18TensorIteratorBaseEENKUlvE_clEvENKUlvE_clEvEUldE_EEvS5_RKT_EUlibE0_EEviT1_,"axG",@progbits,_ZN2at6native32elementwise_kernel_manual_unrollILi128ELi4EZNS0_15gpu_kernel_implIZZZNS0_12_GLOBAL__N_130modified_bessel_i0_kernel_cudaERNS_18TensorIteratorBaseEENKUlvE_clEvENKUlvE_clEvEUldE_EEvS5_RKT_EUlibE0_EEviT1_,comdat
	.globl	_ZN2at6native32elementwise_kernel_manual_unrollILi128ELi4EZNS0_15gpu_kernel_implIZZZNS0_12_GLOBAL__N_130modified_bessel_i0_kernel_cudaERNS_18TensorIteratorBaseEENKUlvE_clEvENKUlvE_clEvEUldE_EEvS5_RKT_EUlibE0_EEviT1_ ; -- Begin function _ZN2at6native32elementwise_kernel_manual_unrollILi128ELi4EZNS0_15gpu_kernel_implIZZZNS0_12_GLOBAL__N_130modified_bessel_i0_kernel_cudaERNS_18TensorIteratorBaseEENKUlvE_clEvENKUlvE_clEvEUldE_EEvS5_RKT_EUlibE0_EEviT1_
	.p2align	8
	.type	_ZN2at6native32elementwise_kernel_manual_unrollILi128ELi4EZNS0_15gpu_kernel_implIZZZNS0_12_GLOBAL__N_130modified_bessel_i0_kernel_cudaERNS_18TensorIteratorBaseEENKUlvE_clEvENKUlvE_clEvEUldE_EEvS5_RKT_EUlibE0_EEviT1_,@function
_ZN2at6native32elementwise_kernel_manual_unrollILi128ELi4EZNS0_15gpu_kernel_implIZZZNS0_12_GLOBAL__N_130modified_bessel_i0_kernel_cudaERNS_18TensorIteratorBaseEENKUlvE_clEvENKUlvE_clEvEUldE_EEvS5_RKT_EUlibE0_EEviT1_: ; @_ZN2at6native32elementwise_kernel_manual_unrollILi128ELi4EZNS0_15gpu_kernel_implIZZZNS0_12_GLOBAL__N_130modified_bessel_i0_kernel_cudaERNS_18TensorIteratorBaseEENKUlvE_clEvENKUlvE_clEvEUldE_EEvS5_RKT_EUlibE0_EEviT1_
; %bb.0:
	s_load_dword s72, s[4:5], 0x0
	s_load_dword s33, s[4:5], 0x8
	s_or_b32 s34, s4, 8
	v_lshl_or_b32 v9, s6, 9, v0
	v_or_b32_e32 v16, 0x180, v9
	s_mov_b32 s35, s5
	s_waitcnt lgkmcnt(0)
	s_add_i32 s74, s33, -1
	s_cmp_gt_u32 s74, 1
	v_cmp_le_i32_e32 vcc, s72, v16
	s_cselect_b64 s[40:41], -1, 0
	s_mov_b64 s[6:7], 0
	s_mov_b64 s[28:29], 0
	s_and_saveexec_b64 s[0:1], vcc
	s_xor_b64 s[42:43], exec, s[0:1]
	s_cbranch_execz .LBB9_1106
; %bb.1:
	v_mov_b32_e32 v0, 0
	global_load_ushort v8, v0, s[34:35] offset:345
	s_load_dwordx4 s[36:39], s[34:35], 0x4
	s_load_dwordx2 s[44:45], s[34:35], 0x14
	s_load_dwordx4 s[28:31], s[34:35], 0xc4
	s_load_dwordx4 s[24:27], s[34:35], 0x148
	s_cmp_lg_u32 s33, 0
	s_cselect_b64 s[50:51], -1, 0
	s_add_u32 s48, s34, 0xc4
	s_addc_u32 s49, s35, 0
	s_min_u32 s73, s74, 15
	s_cmp_gt_u32 s33, 1
	v_cmp_gt_i32_e32 vcc, s72, v9
	s_mov_b64 s[2:3], -1
	s_mov_b64 s[60:61], 0
	s_mov_b64 s[54:55], 0
	s_cselect_b64 s[46:47], -1, 0
	s_mov_b64 s[52:53], 0
	s_waitcnt vmcnt(0)
	v_lshrrev_b16_e32 v6, 8, v8
	s_and_saveexec_b64 s[56:57], vcc
	s_cbranch_execz .LBB9_271
; %bb.2:
	s_andn2_b64 vcc, exec, s[40:41]
	s_cbranch_vccnz .LBB9_8
; %bb.3:
	s_mov_b32 s52, 0
	s_andn2_b64 vcc, exec, s[50:51]
	v_mov_b32_e32 v0, 0
	v_mov_b32_e32 v2, 0
	s_cbranch_vccnz .LBB9_14
; %bb.4:
	s_add_i32 s62, s73, 1
	s_cmp_eq_u32 s74, 2
	s_cbranch_scc1 .LBB9_9
; %bb.5:
	s_and_b32 s52, s62, 28
	s_mov_b32 s53, 0
	v_mov_b32_e32 v2, 0
	s_mov_b64 s[54:55], s[34:35]
	s_mov_b64 s[58:59], s[48:49]
	v_mov_b32_e32 v1, v9
	v_mov_b32_e32 v0, 0
.LBB9_6:                                ; =>This Inner Loop Header: Depth=1
	s_load_dwordx8 s[16:23], s[54:55], 0x4
	s_load_dwordx4 s[0:3], s[54:55], 0x24
	s_load_dwordx8 s[8:15], s[58:59], 0x0
	s_add_u32 s54, s54, 48
	s_addc_u32 s55, s55, 0
	s_waitcnt lgkmcnt(0)
	v_mul_hi_u32 v3, s17, v1
	v_add_u32_e32 v3, v1, v3
	v_lshrrev_b32_e32 v3, s18, v3
	v_mul_lo_u32 v4, v3, s16
	v_mul_hi_u32 v5, s20, v3
	v_sub_u32_e32 v1, v1, v4
	v_add_u32_e32 v4, v3, v5
	v_lshrrev_b32_e32 v4, s21, v4
	v_mul_lo_u32 v7, v4, s19
	v_mul_hi_u32 v10, s23, v4
	v_sub_u32_e32 v3, v3, v7
	v_add_u32_e32 v7, v4, v10
	v_mul_lo_u32 v5, v1, s9
	v_mul_lo_u32 v1, v1, s8
	;; [unrolled: 1-line block ×4, first 2 shown]
	v_lshrrev_b32_e32 v7, s0, v7
	v_add3_u32 v2, v1, v2, v3
	v_mul_lo_u32 v1, v7, s22
	v_mul_hi_u32 v3, s2, v7
	v_sub_u32_e32 v1, v4, v1
	v_add_u32_e32 v3, v7, v3
	v_add3_u32 v0, v5, v0, v10
	v_mul_lo_u32 v4, v1, s12
	v_mul_lo_u32 v5, v1, s13
	v_lshrrev_b32_e32 v1, s3, v3
	s_add_i32 s53, s53, 4
	v_mul_lo_u32 v3, v1, s1
	s_add_u32 s58, s58, 32
	v_sub_u32_e32 v3, v7, v3
	s_addc_u32 s59, s59, 0
	v_mul_lo_u32 v7, v3, s14
	v_mul_lo_u32 v3, v3, s15
	s_cmp_lg_u32 s52, s53
	v_add3_u32 v0, v5, v0, v3
	v_add3_u32 v2, v4, v2, v7
	s_cbranch_scc1 .LBB9_6
; %bb.7:
	v_mov_b32_e32 v3, v0
	s_branch .LBB9_10
.LBB9_8:
                                        ; implicit-def: $vgpr0
                                        ; implicit-def: $vgpr2
	s_branch .LBB9_15
.LBB9_9:
	s_mov_b32 s53, s52
	v_pk_mov_b32 v[2:3], s[52:53], s[52:53] op_sel:[0,1]
                                        ; implicit-def: $vgpr0
	v_mov_b32_e32 v1, v9
.LBB9_10:
	s_and_b32 s8, s62, 3
	s_cmp_eq_u32 s8, 0
	s_cbranch_scc1 .LBB9_14
; %bb.11:
	s_lshl_b32 s0, s52, 3
	s_add_u32 s0, s0, s34
	s_addc_u32 s1, s35, 0
	s_add_u32 s0, s0, 0xc4
	s_addc_u32 s1, s1, 0
	s_mul_i32 s2, s52, 12
	s_add_u32 s2, s34, s2
	s_addc_u32 s3, s35, 0
.LBB9_12:                               ; =>This Inner Loop Header: Depth=1
	s_load_dwordx2 s[10:11], s[2:3], 0x4
	s_load_dword s9, s[2:3], 0xc
	s_load_dwordx2 s[12:13], s[0:1], 0x0
	v_mov_b32_e32 v0, v3
	s_add_u32 s2, s2, 12
	s_waitcnt lgkmcnt(0)
	v_mul_hi_u32 v3, s11, v1
	v_add_u32_e32 v3, v1, v3
	v_lshrrev_b32_e32 v3, s9, v3
	s_addc_u32 s3, s3, 0
	v_mul_lo_u32 v4, v3, s10
	s_add_u32 s0, s0, 8
	v_sub_u32_e32 v7, v1, v4
	v_mov_b32_e32 v1, v3
	s_addc_u32 s1, s1, 0
	s_add_i32 s8, s8, -1
	v_mad_u64_u32 v[4:5], s[10:11], v7, s13, v[0:1]
	v_mad_u64_u32 v[2:3], s[10:11], v7, s12, v[2:3]
	s_cmp_lg_u32 s8, 0
	v_mov_b32_e32 v3, v4
	s_cbranch_scc1 .LBB9_12
; %bb.13:
	v_mov_b32_e32 v0, v3
.LBB9_14:
	s_cbranch_execnz .LBB9_17
.LBB9_15:
	s_waitcnt lgkmcnt(0)
	v_mul_hi_u32 v0, s37, v9
	v_add_u32_e32 v0, v9, v0
	v_lshrrev_b32_e32 v1, s38, v0
	v_mul_lo_u32 v0, v1, s36
	v_sub_u32_e32 v2, v9, v0
	v_mul_lo_u32 v0, v2, s29
	s_andn2_b64 vcc, exec, s[46:47]
	v_mul_lo_u32 v2, v2, s28
	s_cbranch_vccnz .LBB9_17
; %bb.16:
	v_mul_hi_u32 v3, s44, v1
	v_add_u32_e32 v3, v1, v3
	v_lshrrev_b32_e32 v3, s45, v3
	v_mul_lo_u32 v3, v3, s39
	v_sub_u32_e32 v1, v1, v3
	v_mad_u64_u32 v[2:3], s[0:1], v1, s30, v[2:3]
	v_mad_u64_u32 v[0:1], s[0:1], v1, s31, v[0:1]
.LBB9_17:
	s_waitcnt lgkmcnt(0)
	v_mov_b32_e32 v1, s27
	v_add_co_u32_e32 v0, vcc, s26, v0
	v_addc_co_u32_e32 v1, vcc, 0, v1, vcc
	v_cmp_gt_i16_e32 vcc, 11, v6
	s_cbranch_vccnz .LBB9_24
; %bb.18:
	v_cmp_lt_i16_e32 vcc, 25, v6
	s_cbranch_vccz .LBB9_37
; %bb.19:
	v_cmp_lt_i16_e32 vcc, 28, v6
	s_cbranch_vccz .LBB9_40
	;; [unrolled: 3-line block ×4, first 2 shown]
; %bb.22:
	v_cmp_eq_u16_e32 vcc, 46, v6
	s_mov_b64 s[8:9], 0
	s_cbranch_vccz .LBB9_46
; %bb.23:
	global_load_dword v3, v[0:1], off
	s_mov_b64 s[0:1], -1
	s_mov_b64 s[2:3], 0
	s_waitcnt vmcnt(0)
	v_lshlrev_b32_e32 v3, 16, v3
	v_cvt_f64_f32_e32 v[4:5], v3
	s_branch .LBB9_48
.LBB9_24:
	s_mov_b64 s[2:3], 0
                                        ; implicit-def: $vgpr4_vgpr5
	s_mov_b64 s[0:1], 0
	s_cbranch_execnz .LBB9_221
.LBB9_25:
	s_andn2_b64 vcc, exec, s[0:1]
	s_cbranch_vccnz .LBB9_268
.LBB9_26:
	s_mov_b32 s0, 0
	s_mov_b32 s1, 0x40200000
	s_waitcnt vmcnt(0)
	v_cmp_le_f64_e64 s[0:1], |v[4:5]|, s[0:1]
                                        ; implicit-def: $vgpr0_vgpr1
	s_and_saveexec_b64 s[8:9], s[0:1]
	s_xor_b64 s[0:1], exec, s[8:9]
	s_cbranch_execz .LBB9_28
; %bb.27:
	s_mov_b32 s8, 0x2134d0ef
	v_fma_f64 v[0:1], |v[4:5]|, 0.5, -2.0
	v_mov_b32_e32 v10, 0x977da589
	v_mov_b32_e32 v11, 0x3c833362
	s_mov_b32 s9, 0xbc545cb7
	v_fmac_f64_e32 v[10:11], s[8:9], v[0:1]
	v_mov_b32_e32 v12, 0x2134d0ef
	v_mov_b32_e32 v13, 0x3c545cb7
	s_mov_b32 s8, 0x721ebbb4
	v_fmac_f64_e32 v[12:13], v[0:1], v[10:11]
	s_mov_b32 s9, 0xbcb184eb
	v_add_f64 v[12:13], v[12:13], s[8:9]
	s_mov_b32 s8, 0x93f65eba
	v_fma_f64 v[10:11], v[0:1], v[12:13], -v[10:11]
	s_mov_b32 s9, 0x3cdee6d8
	v_add_f64 v[10:11], v[10:11], s[8:9]
	s_mov_b32 s8, 0xc297fbeb
	v_fma_f64 v[12:13], v[0:1], v[10:11], -v[12:13]
	;; [unrolled: 4-line block ×27, first 2 shown]
	s_mov_b32 s9, 0x3fe5a84e
	v_add_f64 v[0:1], v[0:1], s[8:9]
	s_mov_b32 s8, 0x652b82fe
	s_mov_b32 s9, 0x3ff71547
	v_mul_f64 v[12:13], |v[4:5]|, s[8:9]
	s_mov_b32 s8, 0xfefa39ef
	v_rndne_f64_e32 v[12:13], v[12:13]
	s_mov_b32 s9, 0xbfe62e42
	v_fma_f64 v[14:15], v[12:13], s[8:9], |v[4:5]|
	s_mov_b32 s8, 0x3b39803f
	s_mov_b32 s9, 0xbc7abc9e
	v_fmac_f64_e32 v[14:15], s[8:9], v[12:13]
	s_mov_b32 s8, 0x6a5dcb37
	v_mov_b32_e32 v16, 0xfca7ab0c
	v_mov_b32_e32 v17, 0x3e928af3
	s_mov_b32 s9, 0x3e5ade15
	v_fmac_f64_e32 v[16:17], s[8:9], v[14:15]
	v_mov_b32_e32 v18, 0x623fde64
	v_mov_b32_e32 v19, 0x3ec71dee
	v_fmac_f64_e32 v[18:19], v[14:15], v[16:17]
	v_mov_b32_e32 v16, 0x7c89e6b0
	v_mov_b32_e32 v17, 0x3efa0199
	;; [unrolled: 3-line block ×8, first 2 shown]
	v_fmac_f64_e32 v[16:17], v[14:15], v[18:19]
	v_fma_f64 v[16:17], v[14:15], v[16:17], 1.0
	s_mov_b32 s8, 0
	v_fma_f64 v[14:15], v[14:15], v[16:17], 1.0
	v_cvt_i32_f64_e32 v3, v[12:13]
	s_mov_b32 s9, 0x40900000
	v_ldexp_f64 v[12:13], v[14:15], v3
	v_mov_b32_e32 v3, 0x7ff00000
	v_cmp_ngt_f64_e64 vcc, |v[4:5]|, s[8:9]
	v_add_f64 v[0:1], v[0:1], -v[10:11]
	v_cndmask_b32_e32 v5, v3, v13, vcc
	v_cndmask_b32_e32 v4, 0, v12, vcc
	v_mul_f64 v[0:1], v[0:1], 0.5
	v_mul_f64 v[0:1], v[4:5], v[0:1]
                                        ; implicit-def: $vgpr4_vgpr5
.LBB9_28:
	s_andn2_saveexec_b64 s[0:1], s[0:1]
	s_cbranch_execz .LBB9_30
; %bb.29:
	s_mov_b32 s8, 0
	v_and_b32_e32 v1, 0x7fffffff, v5
	v_mov_b32_e32 v0, v4
	s_mov_b32 s9, 0x40400000
	v_div_scale_f64 v[10:11], s[10:11], v[0:1], v[0:1], s[8:9]
	v_rcp_f64_e32 v[12:13], v[10:11]
	v_div_scale_f64 v[0:1], vcc, s[8:9], v[0:1], s[8:9]
	v_mov_b32_e32 v16, 0xfca7ab0c
	v_fma_f64 v[14:15], -v[10:11], v[12:13], 1.0
	v_fmac_f64_e32 v[12:13], v[12:13], v[14:15]
	v_fma_f64 v[14:15], -v[10:11], v[12:13], 1.0
	v_fmac_f64_e32 v[12:13], v[12:13], v[14:15]
	v_mul_f64 v[14:15], v[0:1], v[12:13]
	v_fma_f64 v[0:1], -v[10:11], v[14:15], v[0:1]
	v_div_fmas_f64 v[0:1], v[0:1], v[12:13], v[14:15]
	v_div_fixup_f64 v[0:1], v[0:1], |v[4:5]|, s[8:9]
	s_mov_b32 s8, 0x54ca8b19
	v_add_f64 v[0:1], v[0:1], -2.0
	v_mov_b32_e32 v10, 0x66119130
	v_mov_b32_e32 v11, 0xbc5646da
	s_mov_b32 s9, 0xbc60adb7
	v_fmac_f64_e32 v[10:11], s[8:9], v[0:1]
	v_mov_b32_e32 v12, 0x54ca8b19
	v_mov_b32_e32 v13, 0x3c60adb7
	s_mov_b32 s8, 0x12d98421
	v_fmac_f64_e32 v[12:13], v[0:1], v[10:11]
	s_mov_b32 s9, 0x3c89be18
	v_add_f64 v[12:13], v[12:13], s[8:9]
	s_mov_b32 s8, 0x76041cd
	v_fma_f64 v[10:11], v[0:1], v[12:13], -v[10:11]
	s_mov_b32 s9, 0x3c83f3dd
	v_add_f64 v[10:11], v[10:11], s[8:9]
	s_mov_b32 s8, 0xabd21fe4
	v_fma_f64 v[12:13], v[0:1], v[10:11], -v[12:13]
	;; [unrolled: 4-line block ×22, first 2 shown]
	s_mov_b32 s9, 0x3fe9be62
	v_add_f64 v[0:1], v[0:1], s[8:9]
	s_mov_b32 s8, 0x652b82fe
	s_mov_b32 s9, 0x3ff71547
	v_mul_f64 v[10:11], |v[4:5]|, s[8:9]
	s_mov_b32 s8, 0xfefa39ef
	v_rndne_f64_e32 v[10:11], v[10:11]
	s_mov_b32 s9, 0xbfe62e42
	v_fma_f64 v[14:15], v[10:11], s[8:9], |v[4:5]|
	s_mov_b32 s8, 0x3b39803f
	s_mov_b32 s9, 0xbc7abc9e
	v_fmac_f64_e32 v[14:15], s[8:9], v[10:11]
	s_mov_b32 s8, 0x6a5dcb37
	v_mov_b32_e32 v17, 0x3e928af3
	s_mov_b32 s9, 0x3e5ade15
	v_fmac_f64_e32 v[16:17], s[8:9], v[14:15]
	v_mov_b32_e32 v18, 0x623fde64
	v_mov_b32_e32 v19, 0x3ec71dee
	v_fmac_f64_e32 v[18:19], v[14:15], v[16:17]
	v_mov_b32_e32 v16, 0x7c89e6b0
	v_mov_b32_e32 v17, 0x3efa0199
	;; [unrolled: 3-line block ×8, first 2 shown]
	v_fmac_f64_e32 v[16:17], v[14:15], v[18:19]
	s_mov_b32 s8, 0
	v_fma_f64 v[16:17], v[14:15], v[16:17], 1.0
	s_mov_b32 s9, 0x40900000
	v_fma_f64 v[14:15], v[14:15], v[16:17], 1.0
	v_cvt_i32_f64_e32 v3, v[10:11]
	v_cmp_ngt_f64_e64 vcc, |v[4:5]|, s[8:9]
	s_mov_b32 s8, 0
	v_ldexp_f64 v[10:11], v[14:15], v3
	v_mov_b32_e32 v3, 0x7ff00000
	s_brev_b32 s9, 8
	v_cndmask_b32_e32 v11, v3, v11, vcc
	v_cndmask_b32_e32 v10, 0, v10, vcc
	v_cmp_lt_f64_e64 vcc, |v[4:5]|, s[8:9]
	v_cndmask_b32_e64 v3, 0, 1, vcc
	v_lshlrev_b32_e32 v3, 8, v3
	v_ldexp_f64 v[4:5], |v[4:5]|, v3
	v_rsq_f64_e32 v[14:15], v[4:5]
	v_add_f64 v[0:1], v[0:1], -v[12:13]
	v_mul_f64 v[0:1], v[0:1], 0.5
	v_mul_f64 v[0:1], v[10:11], v[0:1]
	v_mul_f64 v[10:11], v[4:5], v[14:15]
	v_mul_f64 v[12:13], v[14:15], 0.5
	v_fma_f64 v[14:15], -v[12:13], v[10:11], 0.5
	v_fmac_f64_e32 v[10:11], v[10:11], v[14:15]
	v_fma_f64 v[16:17], -v[10:11], v[10:11], v[4:5]
	v_fmac_f64_e32 v[12:13], v[12:13], v[14:15]
	v_fmac_f64_e32 v[10:11], v[16:17], v[12:13]
	v_fma_f64 v[14:15], -v[10:11], v[10:11], v[4:5]
	v_mov_b32_e32 v3, 0xffffff80
	v_fmac_f64_e32 v[10:11], v[14:15], v[12:13]
	v_cndmask_b32_e32 v3, 0, v3, vcc
	v_ldexp_f64 v[10:11], v[10:11], v3
	v_mov_b32_e32 v3, 0x260
	v_cmp_class_f64_e32 vcc, v[4:5], v3
	v_cndmask_b32_e32 v5, v11, v5, vcc
	v_cndmask_b32_e32 v4, v10, v4, vcc
	v_div_scale_f64 v[10:11], s[8:9], v[4:5], v[4:5], v[0:1]
	v_rcp_f64_e32 v[12:13], v[10:11]
	v_fma_f64 v[14:15], -v[10:11], v[12:13], 1.0
	v_fmac_f64_e32 v[12:13], v[12:13], v[14:15]
	v_fma_f64 v[14:15], -v[10:11], v[12:13], 1.0
	v_fmac_f64_e32 v[12:13], v[12:13], v[14:15]
	v_div_scale_f64 v[14:15], vcc, v[0:1], v[4:5], v[0:1]
	v_mul_f64 v[16:17], v[14:15], v[12:13]
	v_fma_f64 v[10:11], -v[10:11], v[16:17], v[14:15]
	s_nop 1
	v_div_fmas_f64 v[10:11], v[10:11], v[12:13], v[16:17]
	v_div_fixup_f64 v[0:1], v[10:11], v[4:5], v[0:1]
.LBB9_30:
	s_or_b64 exec, exec, s[0:1]
	v_mov_b32_e32 v3, s25
	v_add_co_u32_e32 v4, vcc, s24, v2
	v_mov_b32_e32 v2, 11
	v_addc_co_u32_e32 v5, vcc, 0, v3, vcc
	v_cmp_lt_i16_sdwa s[0:1], v8, v2 src0_sel:BYTE_0 src1_sel:DWORD
	s_and_b64 vcc, exec, s[0:1]
	s_cbranch_vccnz .LBB9_38
; %bb.31:
	v_mov_b32_e32 v2, 25
	v_cmp_gt_i16_sdwa s[0:1], v8, v2 src0_sel:BYTE_0 src1_sel:DWORD
	s_and_b64 vcc, exec, s[0:1]
	s_cbranch_vccz .LBB9_41
; %bb.32:
	v_mov_b32_e32 v2, 28
	v_cmp_gt_i16_sdwa s[0:1], v8, v2 src0_sel:BYTE_0 src1_sel:DWORD
	s_and_b64 vcc, exec, s[0:1]
	s_cbranch_vccz .LBB9_43
	;; [unrolled: 5-line block ×4, first 2 shown]
; %bb.35:
	v_mov_b32_e32 v2, 46
	v_cmp_eq_u16_sdwa s[8:9], v8, v2 src0_sel:BYTE_0 src1_sel:DWORD
	s_mov_b64 s[10:11], 0
	s_mov_b64 s[0:1], -1
	s_and_b64 vcc, exec, s[8:9]
	s_mov_b64 s[8:9], 0
	s_cbranch_vccz .LBB9_52
; %bb.36:
	v_cvt_f32_f64_e32 v2, v[0:1]
	v_bfe_u32 v3, v2, 16, 1
	s_movk_i32 s0, 0x7fff
	v_add3_u32 v3, v2, v3, s0
	v_lshrrev_b32_e32 v3, 16, v3
	v_mov_b32_e32 v7, 0x7fc0
	v_cmp_o_f32_e32 vcc, v2, v2
	v_cndmask_b32_e32 v2, v7, v3, vcc
	global_store_dword v[4:5], v2, off
	s_mov_b64 s[8:9], -1
	s_mov_b64 s[0:1], 0
	s_branch .LBB9_52
.LBB9_37:
	s_mov_b64 s[2:3], 0
	s_mov_b64 s[0:1], 0
                                        ; implicit-def: $vgpr4_vgpr5
	s_cbranch_execnz .LBB9_186
	s_branch .LBB9_220
.LBB9_38:
	s_mov_b64 s[0:1], 0
	s_mov_b64 s[8:9], 0
	s_cbranch_execnz .LBB9_121
.LBB9_39:
	s_andn2_b64 vcc, exec, s[8:9]
	s_cbranch_vccnz .LBB9_269
	s_branch .LBB9_159
.LBB9_40:
	s_mov_b64 s[8:9], -1
	s_mov_b64 s[2:3], 0
	s_mov_b64 s[0:1], 0
                                        ; implicit-def: $vgpr4_vgpr5
	s_branch .LBB9_167
.LBB9_41:
	s_mov_b64 s[10:11], -1
	s_mov_b64 s[0:1], 0
	s_mov_b64 s[8:9], 0
	s_branch .LBB9_79
.LBB9_42:
	s_mov_b64 s[8:9], -1
	s_mov_b64 s[2:3], 0
	s_mov_b64 s[0:1], 0
                                        ; implicit-def: $vgpr4_vgpr5
	s_branch .LBB9_162
.LBB9_43:
	s_mov_b64 s[10:11], -1
	s_mov_b64 s[0:1], 0
	s_mov_b64 s[8:9], 0
	s_branch .LBB9_62
.LBB9_44:
	s_mov_b64 s[8:9], -1
	s_mov_b64 s[2:3], 0
	s_branch .LBB9_47
.LBB9_45:
	s_mov_b64 s[10:11], -1
	s_mov_b64 s[0:1], 0
	s_mov_b64 s[8:9], 0
	s_branch .LBB9_58
.LBB9_46:
	s_mov_b64 s[2:3], -1
.LBB9_47:
	s_mov_b64 s[0:1], 0
                                        ; implicit-def: $vgpr4_vgpr5
.LBB9_48:
	s_and_b64 vcc, exec, s[8:9]
	s_cbranch_vccz .LBB9_161
; %bb.49:
	v_cmp_eq_u16_e32 vcc, 44, v6
	s_cbranch_vccz .LBB9_160
; %bb.50:
	global_load_ubyte v3, v[0:1], off
	s_movk_i32 s2, 0xff
	v_bfrev_b32_e32 v7, 4
	v_mov_b32_e32 v10, 0x7ff80000
	v_bfrev_b32_e32 v11, 28
	s_mov_b64 s[0:1], -1
	s_waitcnt vmcnt(0)
	v_lshlrev_b32_e32 v4, 23, v3
	v_cvt_f64_f32_e32 v[4:5], v4
	v_cmp_ne_u32_e32 vcc, s2, v3
	v_cndmask_b32_e32 v4, v7, v4, vcc
	v_cndmask_b32_e32 v5, v10, v5, vcc
	v_cmp_ne_u32_e32 vcc, 0, v3
	v_cndmask_b32_e32 v5, v11, v5, vcc
	v_cndmask_b32_e32 v4, 0, v4, vcc
	s_mov_b64 s[2:3], 0
	s_branch .LBB9_161
.LBB9_51:
	s_mov_b64 s[10:11], -1
	s_mov_b64 s[0:1], 0
	s_mov_b64 s[8:9], 0
.LBB9_52:
	s_and_b64 vcc, exec, s[10:11]
	s_cbranch_vccz .LBB9_57
; %bb.53:
	v_mov_b32_e32 v2, 44
	v_cmp_eq_u16_sdwa s[10:11], v8, v2 src0_sel:BYTE_0 src1_sel:DWORD
	s_mov_b64 s[0:1], -1
	s_and_b64 vcc, exec, s[10:11]
	s_cbranch_vccz .LBB9_57
; %bb.54:
	v_cvt_f32_f64_e32 v2, v[0:1]
	v_bfe_u32 v3, v2, 23, 8
	s_movk_i32 s0, 0xff
	v_cmp_ne_u32_e32 vcc, s0, v3
	v_mov_b32_e32 v7, 0xff
	s_and_saveexec_b64 s[8:9], vcc
; %bb.55:
	s_mov_b32 s0, 0x3fffff
	v_lshrrev_b32_e32 v7, 23, v2
	v_and_b32_e32 v10, 0x400000, v2
	v_and_or_b32 v2, v2, s0, v3
	v_cmp_ne_u32_e32 vcc, 0, v10
	v_cmp_ne_u32_e64 s[0:1], 0, v2
	s_and_b64 s[0:1], vcc, s[0:1]
	v_cndmask_b32_e64 v2, 0, 1, s[0:1]
	v_add_u32_e32 v7, v7, v2
; %bb.56:
	s_or_b64 exec, exec, s[8:9]
	s_mov_b64 s[8:9], -1
	s_mov_b64 s[0:1], 0
	global_store_byte v[4:5], v7, off
.LBB9_57:
	s_mov_b64 s[10:11], 0
.LBB9_58:
	s_and_b64 vcc, exec, s[10:11]
	s_cbranch_vccz .LBB9_61
; %bb.59:
	v_mov_b32_e32 v2, 29
	v_cmp_eq_u16_sdwa s[10:11], v8, v2 src0_sel:BYTE_0 src1_sel:DWORD
	s_mov_b64 s[0:1], -1
	s_and_b64 vcc, exec, s[10:11]
	s_cbranch_vccz .LBB9_61
; %bb.60:
	v_trunc_f64_e32 v[2:3], v[0:1]
	s_movk_i32 s0, 0xffe0
	v_ldexp_f64 v[10:11], v[2:3], s0
	v_floor_f64_e32 v[10:11], v[10:11]
	v_fmac_f64_e32 v[2:3], 0xc1f00000, v[10:11]
	v_cvt_u32_f64_e32 v13, v[10:11]
	v_cvt_u32_f64_e32 v12, v[2:3]
	global_store_dwordx2 v[4:5], v[12:13], off
	s_mov_b64 s[8:9], -1
	s_mov_b64 s[0:1], 0
.LBB9_61:
	s_mov_b64 s[10:11], 0
.LBB9_62:
	s_and_b64 vcc, exec, s[10:11]
	s_cbranch_vccz .LBB9_78
; %bb.63:
	v_mov_b32_e32 v2, 27
	v_cmp_lt_i16_sdwa s[10:11], v8, v2 src0_sel:BYTE_0 src1_sel:DWORD
	s_mov_b64 s[8:9], -1
	s_and_b64 vcc, exec, s[10:11]
	s_cbranch_vccnz .LBB9_69
; %bb.64:
	v_cmp_gt_i16_sdwa s[10:11], v8, v2 src0_sel:BYTE_0 src1_sel:DWORD
	s_and_b64 vcc, exec, s[10:11]
	v_cvt_u32_f64_e32 v2, v[0:1]
	s_cbranch_vccz .LBB9_66
; %bb.65:
	s_mov_b64 s[8:9], 0
	global_store_dword v[4:5], v2, off
.LBB9_66:
	s_andn2_b64 vcc, exec, s[8:9]
	s_cbranch_vccnz .LBB9_68
; %bb.67:
	global_store_short v[4:5], v2, off
.LBB9_68:
	s_mov_b64 s[8:9], 0
.LBB9_69:
	s_andn2_b64 vcc, exec, s[8:9]
	s_cbranch_vccnz .LBB9_77
; %bb.70:
	v_cvt_f32_f64_e32 v2, v[0:1]
	v_and_b32_e32 v3, 0x7fffffff, v2
	s_mov_b32 s8, 0x43800000
	v_cmp_gt_u32_e32 vcc, s8, v3
	v_mov_b32_e32 v7, 0x80
	s_and_saveexec_b64 s[8:9], vcc
	s_cbranch_execz .LBB9_76
; %bb.71:
	s_mov_b32 s10, 0x3bffffff
	v_cmp_lt_u32_e32 vcc, s10, v3
	s_mov_b64 s[10:11], 0
                                        ; implicit-def: $vgpr3
	s_and_saveexec_b64 s[12:13], vcc
	s_xor_b64 s[12:13], exec, s[12:13]
	s_cbranch_execz .LBB9_317
; %bb.72:
	v_bfe_u32 v3, v2, 20, 1
	s_mov_b32 s14, 0x487ffff
	v_add3_u32 v3, v2, v3, s14
	s_mov_b64 s[10:11], exec
	v_lshrrev_b32_e32 v3, 20, v3
	s_or_saveexec_b64 s[12:13], s[12:13]
                                        ; implicit-def: $sgpr14
	s_xor_b64 exec, exec, s[12:13]
	s_cbranch_execnz .LBB9_318
.LBB9_73:
	s_or_b64 exec, exec, s[12:13]
	v_mov_b32_e32 v7, s14
	s_and_saveexec_b64 s[12:13], s[10:11]
.LBB9_74:
	v_lshrrev_b32_e32 v2, 24, v2
	s_movk_i32 s10, 0x80
	v_and_or_b32 v7, v2, s10, v3
.LBB9_75:
	s_or_b64 exec, exec, s[12:13]
.LBB9_76:
	s_or_b64 exec, exec, s[8:9]
	global_store_byte v[4:5], v7, off
.LBB9_77:
	s_mov_b64 s[8:9], -1
.LBB9_78:
	s_mov_b64 s[10:11], 0
.LBB9_79:
	s_and_b64 vcc, exec, s[10:11]
	s_cbranch_vccz .LBB9_120
; %bb.80:
	v_mov_b32_e32 v2, 22
	v_cmp_gt_i16_sdwa s[12:13], v8, v2 src0_sel:BYTE_0 src1_sel:DWORD
	s_mov_b64 s[10:11], -1
	s_and_b64 vcc, exec, s[12:13]
	s_cbranch_vccz .LBB9_112
; %bb.81:
	v_mov_b32_e32 v2, 24
	v_cmp_lt_i16_sdwa s[10:11], v8, v2 src0_sel:BYTE_0 src1_sel:DWORD
	s_mov_b64 s[8:9], -1
	s_and_b64 vcc, exec, s[10:11]
	s_cbranch_vccnz .LBB9_101
; %bb.82:
	v_cmp_gt_i16_sdwa s[10:11], v8, v2 src0_sel:BYTE_0 src1_sel:DWORD
	s_and_b64 vcc, exec, s[10:11]
	s_cbranch_vccz .LBB9_90
; %bb.83:
	v_cvt_f32_f64_e32 v2, v[0:1]
	v_and_b32_e32 v3, 0x7fffffff, v2
	s_mov_b32 s8, 0x47800000
	v_cmp_gt_u32_e32 vcc, s8, v3
	v_mov_b32_e32 v7, 0x80
	s_and_saveexec_b64 s[8:9], vcc
	s_cbranch_execz .LBB9_89
; %bb.84:
	s_mov_b32 s10, 0x37ffffff
	v_cmp_lt_u32_e32 vcc, s10, v3
	s_mov_b64 s[10:11], 0
                                        ; implicit-def: $vgpr3
	s_and_saveexec_b64 s[12:13], vcc
	s_xor_b64 s[12:13], exec, s[12:13]
	s_cbranch_execz .LBB9_321
; %bb.85:
	v_bfe_u32 v3, v2, 21, 1
	s_mov_b32 s14, 0x88fffff
	v_add3_u32 v3, v2, v3, s14
	s_mov_b64 s[10:11], exec
	v_lshrrev_b32_e32 v3, 21, v3
	s_or_saveexec_b64 s[12:13], s[12:13]
                                        ; implicit-def: $sgpr14
	s_xor_b64 exec, exec, s[12:13]
	s_cbranch_execnz .LBB9_322
.LBB9_86:
	s_or_b64 exec, exec, s[12:13]
	v_mov_b32_e32 v7, s14
	s_and_saveexec_b64 s[12:13], s[10:11]
.LBB9_87:
	v_lshrrev_b32_e32 v2, 24, v2
	s_movk_i32 s10, 0x80
	v_and_or_b32 v7, v2, s10, v3
.LBB9_88:
	s_or_b64 exec, exec, s[12:13]
.LBB9_89:
	s_or_b64 exec, exec, s[8:9]
	s_mov_b64 s[8:9], 0
	global_store_byte v[4:5], v7, off
.LBB9_90:
	s_and_b64 vcc, exec, s[8:9]
	s_cbranch_vccz .LBB9_100
; %bb.91:
	v_cvt_f32_f64_e32 v2, v[0:1]
	v_and_b32_e32 v7, 0x7fffffff, v2
	s_mov_b32 s8, 0x43f00000
	v_cmp_gt_u32_e32 vcc, s8, v7
                                        ; implicit-def: $vgpr3
	s_and_saveexec_b64 s[8:9], vcc
	s_xor_b64 s[8:9], exec, s[8:9]
	s_cbranch_execz .LBB9_97
; %bb.92:
	s_mov_b32 s10, 0x3c7fffff
	v_cmp_lt_u32_e32 vcc, s10, v7
                                        ; implicit-def: $vgpr3
	s_and_saveexec_b64 s[10:11], vcc
	s_xor_b64 s[10:11], exec, s[10:11]
; %bb.93:
	v_bfe_u32 v3, v2, 20, 1
	s_mov_b32 s12, 0x407ffff
	v_add3_u32 v3, v2, v3, s12
	v_lshrrev_b32_e32 v7, 20, v3
	v_and_b32_e32 v3, 0xff00000, v3
	s_mov_b32 s12, 0x7f00000
	v_mov_b32_e32 v10, 0x7e
	v_cmp_ne_u32_e32 vcc, s12, v3
	v_cndmask_b32_e32 v3, v10, v7, vcc
; %bb.94:
	s_andn2_saveexec_b64 s[10:11], s[10:11]
; %bb.95:
	s_mov_b32 s12, 0x46800000
	v_add_f32_e64 v3, |v2|, s12
; %bb.96:
	s_or_b64 exec, exec, s[10:11]
                                        ; implicit-def: $vgpr7
.LBB9_97:
	s_andn2_saveexec_b64 s[8:9], s[8:9]
; %bb.98:
	s_mov_b32 s10, 0x7f800000
	v_mov_b32_e32 v3, 0x7e
	v_mov_b32_e32 v10, 0x7f
	v_cmp_lt_u32_e32 vcc, s10, v7
	v_cndmask_b32_e32 v3, v3, v10, vcc
; %bb.99:
	s_or_b64 exec, exec, s[8:9]
	v_lshrrev_b32_e32 v2, 24, v2
	s_movk_i32 s8, 0x80
	v_and_or_b32 v2, v2, s8, v3
	global_store_byte v[4:5], v2, off
.LBB9_100:
	s_mov_b64 s[8:9], 0
.LBB9_101:
	s_andn2_b64 vcc, exec, s[8:9]
	s_cbranch_vccnz .LBB9_111
; %bb.102:
	v_cvt_f32_f64_e32 v2, v[0:1]
	v_and_b32_e32 v7, 0x7fffffff, v2
	s_mov_b32 s8, 0x47800000
	v_cmp_gt_u32_e32 vcc, s8, v7
                                        ; implicit-def: $vgpr3
	s_and_saveexec_b64 s[8:9], vcc
	s_xor_b64 s[8:9], exec, s[8:9]
	s_cbranch_execz .LBB9_108
; %bb.103:
	s_mov_b32 s10, 0x387fffff
	v_cmp_lt_u32_e32 vcc, s10, v7
                                        ; implicit-def: $vgpr3
	s_and_saveexec_b64 s[10:11], vcc
	s_xor_b64 s[10:11], exec, s[10:11]
; %bb.104:
	v_bfe_u32 v3, v2, 21, 1
	s_mov_b32 s12, 0x80fffff
	v_add3_u32 v3, v2, v3, s12
	v_lshrrev_b32_e32 v3, 21, v3
; %bb.105:
	s_andn2_saveexec_b64 s[10:11], s[10:11]
; %bb.106:
	s_mov_b32 s12, 0x43000000
	v_add_f32_e64 v3, |v2|, s12
; %bb.107:
	s_or_b64 exec, exec, s[10:11]
                                        ; implicit-def: $vgpr7
.LBB9_108:
	s_andn2_saveexec_b64 s[8:9], s[8:9]
; %bb.109:
	s_mov_b32 s10, 0x7f800000
	v_mov_b32_e32 v3, 0x7c
	v_mov_b32_e32 v10, 0x7f
	v_cmp_lt_u32_e32 vcc, s10, v7
	v_cndmask_b32_e32 v3, v3, v10, vcc
; %bb.110:
	s_or_b64 exec, exec, s[8:9]
	v_lshrrev_b32_e32 v2, 24, v2
	s_movk_i32 s8, 0x80
	v_and_or_b32 v2, v2, s8, v3
	global_store_byte v[4:5], v2, off
.LBB9_111:
	s_mov_b64 s[10:11], 0
	s_mov_b64 s[8:9], -1
.LBB9_112:
	s_andn2_b64 vcc, exec, s[10:11]
	s_cbranch_vccnz .LBB9_120
; %bb.113:
	v_mov_b32_e32 v2, 14
	v_cmp_gt_i16_sdwa s[12:13], v8, v2 src0_sel:BYTE_0 src1_sel:DWORD
	s_mov_b64 s[10:11], -1
	s_and_b64 vcc, exec, s[12:13]
	s_cbranch_vccz .LBB9_117
; %bb.114:
	v_mov_b32_e32 v2, 15
	v_cmp_eq_u16_sdwa s[10:11], v8, v2 src0_sel:BYTE_0 src1_sel:DWORD
	s_mov_b64 s[0:1], -1
	s_and_b64 vcc, exec, s[10:11]
	s_cbranch_vccz .LBB9_116
; %bb.115:
	v_cvt_f32_f64_e32 v2, v[0:1]
	v_bfe_u32 v3, v2, 16, 1
	s_movk_i32 s0, 0x7fff
	v_add3_u32 v3, v2, v3, s0
	v_lshrrev_b32_e32 v3, 16, v3
	v_mov_b32_e32 v7, 0x7fc0
	v_cmp_o_f32_e32 vcc, v2, v2
	v_cndmask_b32_e32 v2, v7, v3, vcc
	global_store_short v[4:5], v2, off
	s_mov_b64 s[8:9], -1
	s_mov_b64 s[0:1], 0
.LBB9_116:
	s_mov_b64 s[10:11], 0
.LBB9_117:
	s_and_b64 vcc, exec, s[10:11]
	s_cbranch_vccz .LBB9_120
; %bb.118:
	v_mov_b32_e32 v2, 11
	v_cmp_eq_u16_sdwa s[10:11], v8, v2 src0_sel:BYTE_0 src1_sel:DWORD
	s_mov_b64 s[0:1], -1
	s_and_b64 vcc, exec, s[10:11]
	s_cbranch_vccz .LBB9_120
; %bb.119:
	v_cmp_neq_f64_e32 vcc, 0, v[0:1]
	s_mov_b64 s[0:1], 0
	v_cndmask_b32_e64 v2, 0, 1, vcc
	s_mov_b64 s[8:9], -1
	global_store_byte v[4:5], v2, off
.LBB9_120:
	s_branch .LBB9_39
.LBB9_121:
	v_mov_b32_e32 v2, 5
	v_cmp_lt_i16_sdwa s[10:11], v8, v2 src0_sel:BYTE_0 src1_sel:DWORD
	s_mov_b64 s[8:9], -1
	s_and_b64 vcc, exec, s[10:11]
	s_cbranch_vccnz .LBB9_142
; %bb.122:
	v_mov_b32_e32 v2, 8
	v_cmp_lt_i16_sdwa s[10:11], v8, v2 src0_sel:BYTE_0 src1_sel:DWORD
	s_and_b64 vcc, exec, s[10:11]
	s_cbranch_vccnz .LBB9_132
; %bb.123:
	v_mov_b32_e32 v2, 9
	v_cmp_lt_i16_sdwa s[10:11], v8, v2 src0_sel:BYTE_0 src1_sel:DWORD
	s_and_b64 vcc, exec, s[10:11]
	s_cbranch_vccnz .LBB9_129
; %bb.124:
	v_cmp_gt_i16_sdwa s[10:11], v8, v2 src0_sel:BYTE_0 src1_sel:DWORD
	s_and_b64 vcc, exec, s[10:11]
	s_cbranch_vccz .LBB9_126
; %bb.125:
	v_mov_b32_e32 v2, 0
	v_mov_b32_e32 v3, v2
	global_store_dwordx4 v[4:5], v[0:3], off
	s_mov_b64 s[8:9], 0
.LBB9_126:
	s_andn2_b64 vcc, exec, s[8:9]
	s_cbranch_vccnz .LBB9_128
; %bb.127:
	v_cvt_f32_f64_e32 v2, v[0:1]
	v_mov_b32_e32 v3, 0
	global_store_dwordx2 v[4:5], v[2:3], off
.LBB9_128:
	s_mov_b64 s[8:9], 0
.LBB9_129:
	s_andn2_b64 vcc, exec, s[8:9]
	s_cbranch_vccnz .LBB9_131
; %bb.130:
	v_cvt_f32_f64_e32 v2, v[0:1]
	v_cvt_f16_f32_e32 v2, v2
	global_store_dword v[4:5], v2, off
.LBB9_131:
	s_mov_b64 s[8:9], 0
.LBB9_132:
	s_andn2_b64 vcc, exec, s[8:9]
	s_cbranch_vccnz .LBB9_141
; %bb.133:
	v_mov_b32_e32 v2, 6
	v_cmp_lt_i16_sdwa s[10:11], v8, v2 src0_sel:BYTE_0 src1_sel:DWORD
	s_mov_b64 s[8:9], -1
	s_and_b64 vcc, exec, s[10:11]
	s_cbranch_vccnz .LBB9_139
; %bb.134:
	v_cmp_gt_i16_sdwa s[10:11], v8, v2 src0_sel:BYTE_0 src1_sel:DWORD
	s_and_b64 vcc, exec, s[10:11]
	s_cbranch_vccz .LBB9_136
; %bb.135:
	global_store_dwordx2 v[4:5], v[0:1], off
	s_mov_b64 s[8:9], 0
.LBB9_136:
	s_andn2_b64 vcc, exec, s[8:9]
	s_cbranch_vccnz .LBB9_138
; %bb.137:
	v_cvt_f32_f64_e32 v2, v[0:1]
	global_store_dword v[4:5], v2, off
.LBB9_138:
	s_mov_b64 s[8:9], 0
.LBB9_139:
	s_andn2_b64 vcc, exec, s[8:9]
	s_cbranch_vccnz .LBB9_141
; %bb.140:
	v_cvt_f32_f64_e32 v2, v[0:1]
	v_cvt_f16_f32_e32 v2, v2
	global_store_short v[4:5], v2, off
.LBB9_141:
	s_mov_b64 s[8:9], 0
.LBB9_142:
	s_andn2_b64 vcc, exec, s[8:9]
	s_cbranch_vccnz .LBB9_158
; %bb.143:
	v_mov_b32_e32 v2, 2
	v_cmp_lt_i16_sdwa s[10:11], v8, v2 src0_sel:BYTE_0 src1_sel:DWORD
	s_mov_b64 s[8:9], -1
	s_and_b64 vcc, exec, s[10:11]
	s_cbranch_vccnz .LBB9_153
; %bb.144:
	v_mov_b32_e32 v2, 3
	v_cmp_lt_i16_sdwa s[10:11], v8, v2 src0_sel:BYTE_0 src1_sel:DWORD
	s_and_b64 vcc, exec, s[10:11]
	s_cbranch_vccnz .LBB9_150
; %bb.145:
	v_cmp_gt_i16_sdwa s[10:11], v8, v2 src0_sel:BYTE_0 src1_sel:DWORD
	s_and_b64 vcc, exec, s[10:11]
	s_cbranch_vccz .LBB9_147
; %bb.146:
	v_trunc_f64_e32 v[2:3], v[0:1]
	s_movk_i32 s8, 0xffe0
	v_ldexp_f64 v[10:11], v[2:3], s8
	v_floor_f64_e32 v[10:11], v[10:11]
	v_fmac_f64_e32 v[2:3], 0xc1f00000, v[10:11]
	v_cvt_i32_f64_e32 v13, v[10:11]
	v_cvt_u32_f64_e32 v12, v[2:3]
	global_store_dwordx2 v[4:5], v[12:13], off
	s_mov_b64 s[8:9], 0
.LBB9_147:
	s_andn2_b64 vcc, exec, s[8:9]
	s_cbranch_vccnz .LBB9_149
; %bb.148:
	v_cvt_i32_f64_e32 v2, v[0:1]
	global_store_dword v[4:5], v2, off
.LBB9_149:
	s_mov_b64 s[8:9], 0
.LBB9_150:
	s_andn2_b64 vcc, exec, s[8:9]
	s_cbranch_vccnz .LBB9_152
; %bb.151:
	v_cvt_i32_f64_e32 v2, v[0:1]
	global_store_short v[4:5], v2, off
.LBB9_152:
	s_mov_b64 s[8:9], 0
.LBB9_153:
	s_andn2_b64 vcc, exec, s[8:9]
	s_cbranch_vccnz .LBB9_158
; %bb.154:
	v_mov_b32_e32 v2, 0
	v_cmp_gt_i16_sdwa s[10:11], v8, v2 src0_sel:BYTE_0 src1_sel:DWORD
	s_mov_b64 s[8:9], -1
	s_and_b64 vcc, exec, s[10:11]
	s_cbranch_vccz .LBB9_156
; %bb.155:
	v_cvt_i32_f64_e32 v2, v[0:1]
	global_store_byte v[4:5], v2, off
	s_mov_b64 s[8:9], 0
.LBB9_156:
	s_andn2_b64 vcc, exec, s[8:9]
	s_cbranch_vccnz .LBB9_158
; %bb.157:
	v_trunc_f64_e32 v[0:1], v[0:1]
	s_movk_i32 s8, 0xffe0
	v_ldexp_f64 v[2:3], v[0:1], s8
	v_floor_f64_e32 v[2:3], v[2:3]
	v_fmac_f64_e32 v[0:1], 0xc1f00000, v[2:3]
	v_cvt_u32_f64_e32 v0, v[0:1]
	global_store_byte v[4:5], v0, off
.LBB9_158:
.LBB9_159:
	v_add_u32_e32 v9, 0x80, v9
	s_mov_b64 s[8:9], -1
	s_branch .LBB9_270
.LBB9_160:
	s_mov_b64 s[2:3], -1
                                        ; implicit-def: $vgpr4_vgpr5
.LBB9_161:
	s_mov_b64 s[8:9], 0
.LBB9_162:
	s_and_b64 vcc, exec, s[8:9]
	s_cbranch_vccz .LBB9_166
; %bb.163:
	v_cmp_eq_u16_e32 vcc, 29, v6
	s_cbranch_vccz .LBB9_165
; %bb.164:
	global_load_dwordx2 v[4:5], v[0:1], off
	s_mov_b64 s[0:1], -1
	s_mov_b64 s[2:3], 0
	s_mov_b64 s[8:9], 0
	s_waitcnt vmcnt(0)
	v_cvt_f64_u32_e32 v[10:11], v5
	v_cvt_f64_u32_e32 v[4:5], v4
	v_ldexp_f64 v[10:11], v[10:11], 32
	v_add_f64 v[4:5], v[10:11], v[4:5]
	s_branch .LBB9_167
.LBB9_165:
	s_mov_b64 s[2:3], -1
                                        ; implicit-def: $vgpr4_vgpr5
.LBB9_166:
	s_mov_b64 s[8:9], 0
.LBB9_167:
	s_and_b64 vcc, exec, s[8:9]
	s_cbranch_vccz .LBB9_185
; %bb.168:
	v_cmp_gt_i16_e32 vcc, 27, v6
	s_cbranch_vccnz .LBB9_171
; %bb.169:
	v_cmp_lt_i16_e32 vcc, 27, v6
	s_cbranch_vccz .LBB9_172
; %bb.170:
	global_load_dword v3, v[0:1], off
	s_mov_b64 s[0:1], 0
	s_waitcnt vmcnt(0)
	v_cvt_f64_u32_e32 v[4:5], v3
	s_branch .LBB9_173
.LBB9_171:
	s_mov_b64 s[0:1], -1
                                        ; implicit-def: $vgpr4_vgpr5
	s_branch .LBB9_176
.LBB9_172:
	s_mov_b64 s[0:1], -1
                                        ; implicit-def: $vgpr4_vgpr5
.LBB9_173:
	s_andn2_b64 vcc, exec, s[0:1]
	s_cbranch_vccnz .LBB9_175
; %bb.174:
	global_load_ushort v3, v[0:1], off
	s_waitcnt vmcnt(0)
	v_cvt_f64_u32_e32 v[4:5], v3
.LBB9_175:
	s_mov_b64 s[0:1], 0
.LBB9_176:
	s_andn2_b64 vcc, exec, s[0:1]
	s_cbranch_vccnz .LBB9_184
; %bb.177:
	global_load_ubyte v3, v[0:1], off
	s_movk_i32 s0, 0x7f
                                        ; implicit-def: $sgpr8_sgpr9
	s_waitcnt vmcnt(0)
	v_cmp_lt_i16_e32 vcc, s0, v3
	s_mov_b64 s[0:1], 0
	s_and_saveexec_b64 s[10:11], vcc
	s_xor_b64 s[10:11], exec, s[10:11]
	s_cbranch_execz .LBB9_197
; %bb.178:
	s_movk_i32 s0, 0x80
	v_cmp_eq_u16_e32 vcc, s0, v3
	s_mov_b64 s[12:13], -1
                                        ; implicit-def: $sgpr8_sgpr9
	s_and_saveexec_b64 s[0:1], vcc
; %bb.179:
	s_mov_b32 s9, 0x7ff80000
	s_brev_b32 s8, 4
	s_xor_b64 s[12:13], exec, -1
; %bb.180:
	s_or_b64 exec, exec, s[0:1]
	s_and_b64 s[0:1], s[12:13], exec
	s_or_saveexec_b64 s[10:11], s[10:11]
	v_pk_mov_b32 v[4:5], s[8:9], s[8:9] op_sel:[0,1]
	s_xor_b64 exec, exec, s[10:11]
	s_cbranch_execnz .LBB9_198
.LBB9_181:
	s_or_b64 exec, exec, s[10:11]
	s_and_saveexec_b64 s[8:9], s[0:1]
	s_cbranch_execz .LBB9_183
.LBB9_182:
	v_lshlrev_b32_e32 v4, 24, v3
	v_and_b32_e32 v3, 0xffff, v3
	v_and_b32_e32 v5, 7, v3
	v_ffbh_u32_e32 v10, v5
	v_min_u32_e32 v10, 32, v10
	v_subrev_u32_e32 v11, 28, v10
	v_bfe_u32 v7, v3, 3, 4
	v_lshlrev_b32_e32 v3, v11, v3
	v_sub_u32_e32 v10, 29, v10
	v_and_b32_e32 v3, 7, v3
	v_cmp_eq_u32_e32 vcc, 0, v7
	v_cndmask_b32_e32 v7, v7, v10, vcc
	v_cndmask_b32_e32 v3, v5, v3, vcc
	v_mov_b32_e32 v5, 0x3b800000
	v_lshlrev_b32_e32 v3, 20, v3
	v_and_b32_e32 v4, 0x80000000, v4
	v_lshl_add_u32 v5, v7, 23, v5
	v_or3_b32 v3, v4, v5, v3
	v_cvt_f64_f32_e32 v[4:5], v3
.LBB9_183:
	s_or_b64 exec, exec, s[8:9]
.LBB9_184:
	s_mov_b64 s[0:1], -1
.LBB9_185:
	s_branch .LBB9_220
.LBB9_186:
	v_cmp_lt_i16_e32 vcc, 22, v6
	s_cbranch_vccz .LBB9_196
; %bb.187:
	v_cmp_gt_i16_e32 vcc, 24, v6
	s_cbranch_vccnz .LBB9_199
; %bb.188:
	v_cmp_lt_i16_e32 vcc, 24, v6
	s_cbranch_vccz .LBB9_200
; %bb.189:
	global_load_ubyte v3, v[0:1], off
	s_movk_i32 s0, 0x7f
                                        ; implicit-def: $sgpr8_sgpr9
	s_waitcnt vmcnt(0)
	v_cmp_lt_i16_e32 vcc, s0, v3
	s_mov_b64 s[0:1], 0
	s_and_saveexec_b64 s[10:11], vcc
	s_xor_b64 s[10:11], exec, s[10:11]
	s_cbranch_execz .LBB9_212
; %bb.190:
	s_movk_i32 s0, 0x80
	v_cmp_eq_u16_e32 vcc, s0, v3
	s_mov_b64 s[12:13], -1
                                        ; implicit-def: $sgpr8_sgpr9
	s_and_saveexec_b64 s[0:1], vcc
; %bb.191:
	s_mov_b32 s9, 0x7ff80000
	s_brev_b32 s8, 4
	s_xor_b64 s[12:13], exec, -1
; %bb.192:
	s_or_b64 exec, exec, s[0:1]
	s_and_b64 s[0:1], s[12:13], exec
	s_or_saveexec_b64 s[10:11], s[10:11]
	v_pk_mov_b32 v[4:5], s[8:9], s[8:9] op_sel:[0,1]
	s_xor_b64 exec, exec, s[10:11]
	s_cbranch_execnz .LBB9_213
.LBB9_193:
	s_or_b64 exec, exec, s[10:11]
	s_and_saveexec_b64 s[8:9], s[0:1]
	s_cbranch_execz .LBB9_195
.LBB9_194:
	v_lshlrev_b32_e32 v4, 24, v3
	v_and_b32_e32 v3, 0xffff, v3
	v_and_b32_e32 v5, 3, v3
	v_ffbh_u32_e32 v10, v5
	v_min_u32_e32 v10, 32, v10
	v_subrev_u32_e32 v11, 29, v10
	v_bfe_u32 v7, v3, 2, 5
	v_lshlrev_b32_e32 v3, v11, v3
	v_sub_u32_e32 v10, 30, v10
	v_and_b32_e32 v3, 3, v3
	v_cmp_eq_u32_e32 vcc, 0, v7
	v_cndmask_b32_e32 v7, v7, v10, vcc
	v_cndmask_b32_e32 v3, v5, v3, vcc
	v_mov_b32_e32 v5, 0x37800000
	v_lshlrev_b32_e32 v3, 21, v3
	v_and_b32_e32 v4, 0x80000000, v4
	v_lshl_add_u32 v5, v7, 23, v5
	v_or3_b32 v3, v4, v5, v3
	v_cvt_f64_f32_e32 v[4:5], v3
.LBB9_195:
	s_or_b64 exec, exec, s[8:9]
	s_mov_b64 s[0:1], 0
	s_branch .LBB9_201
.LBB9_196:
	s_mov_b64 s[8:9], -1
                                        ; implicit-def: $vgpr4_vgpr5
	s_branch .LBB9_207
.LBB9_197:
	s_or_saveexec_b64 s[10:11], s[10:11]
	v_pk_mov_b32 v[4:5], s[8:9], s[8:9] op_sel:[0,1]
	s_xor_b64 exec, exec, s[10:11]
	s_cbranch_execz .LBB9_181
.LBB9_198:
	v_cmp_ne_u16_e32 vcc, 0, v3
	s_andn2_b64 s[0:1], s[0:1], exec
	s_and_b64 s[8:9], vcc, exec
	v_pk_mov_b32 v[4:5], 0, 0
	s_or_b64 s[0:1], s[0:1], s[8:9]
	s_or_b64 exec, exec, s[10:11]
	s_and_saveexec_b64 s[8:9], s[0:1]
	s_cbranch_execnz .LBB9_182
	s_branch .LBB9_183
.LBB9_199:
	s_mov_b64 s[0:1], -1
                                        ; implicit-def: $vgpr4_vgpr5
	s_branch .LBB9_204
.LBB9_200:
	s_mov_b64 s[0:1], -1
                                        ; implicit-def: $vgpr4_vgpr5
.LBB9_201:
	s_and_b64 vcc, exec, s[0:1]
	s_cbranch_vccz .LBB9_203
; %bb.202:
	global_load_ubyte v3, v[0:1], off
	s_mov_b32 s0, 0x7f800000
	s_waitcnt vmcnt(0)
	v_lshlrev_b32_e32 v3, 24, v3
	v_and_b32_e32 v4, 0x7f000000, v3
	v_ffbh_u32_e32 v5, v4
	v_min_u32_e32 v5, 32, v5
	v_sub_u32_e64 v5, v5, 4 clamp
	v_lshlrev_b32_e32 v10, v5, v4
	v_lshlrev_b32_e32 v5, 23, v5
	v_lshrrev_b32_e32 v10, 4, v10
	v_add_u32_e32 v7, 0x1000000, v4
	v_sub_u32_e32 v5, v10, v5
	v_ashrrev_i32_e32 v7, 8, v7
	v_add_u32_e32 v5, 0x3c000000, v5
	v_and_or_b32 v5, v7, s0, v5
	v_cmp_ne_u32_e32 vcc, 0, v4
	v_cndmask_b32_e32 v4, 0, v5, vcc
	s_brev_b32 s0, 1
	v_and_or_b32 v3, v3, s0, v4
	v_cvt_f64_f32_e32 v[4:5], v3
.LBB9_203:
	s_mov_b64 s[0:1], 0
.LBB9_204:
	s_andn2_b64 vcc, exec, s[0:1]
	s_cbranch_vccnz .LBB9_206
; %bb.205:
	global_load_ubyte v3, v[0:1], off
	s_movk_i32 s0, 0x7f00
	s_brev_b32 s1, 16
	s_waitcnt vmcnt(0)
	v_lshlrev_b16_e32 v4, 8, v3
	v_lshlrev_b32_e32 v3, 25, v3
	v_lshrrev_b32_e32 v5, 4, v3
	v_and_or_b32 v7, v4, s0, 0.5
	v_or_b32_e32 v5, 0x70000000, v5
	v_add_f32_e32 v7, -0.5, v7
	v_mul_f32_e32 v5, 0x7800000, v5
	v_cmp_gt_u32_e32 vcc, s1, v3
	v_bfe_i32 v4, v4, 0, 16
	v_cndmask_b32_e32 v3, v5, v7, vcc
	s_brev_b32 s0, 1
	v_and_or_b32 v3, v4, s0, v3
	v_cvt_f64_f32_e32 v[4:5], v3
.LBB9_206:
	s_mov_b64 s[8:9], 0
	s_mov_b64 s[0:1], -1
.LBB9_207:
	s_andn2_b64 vcc, exec, s[8:9]
	s_cbranch_vccnz .LBB9_220
; %bb.208:
	v_cmp_lt_i16_e32 vcc, 14, v6
	s_cbranch_vccz .LBB9_211
; %bb.209:
	v_cmp_eq_u16_e32 vcc, 15, v6
	s_cbranch_vccz .LBB9_214
; %bb.210:
	global_load_ushort v3, v[0:1], off
	s_mov_b64 s[0:1], -1
	s_mov_b64 s[2:3], 0
	s_waitcnt vmcnt(0)
	v_lshlrev_b32_e32 v3, 16, v3
	v_cvt_f64_f32_e32 v[4:5], v3
	s_branch .LBB9_215
.LBB9_211:
	s_mov_b64 s[8:9], -1
                                        ; implicit-def: $vgpr4_vgpr5
	s_branch .LBB9_216
.LBB9_212:
	s_or_saveexec_b64 s[10:11], s[10:11]
	v_pk_mov_b32 v[4:5], s[8:9], s[8:9] op_sel:[0,1]
	s_xor_b64 exec, exec, s[10:11]
	s_cbranch_execz .LBB9_193
.LBB9_213:
	v_cmp_ne_u16_e32 vcc, 0, v3
	s_andn2_b64 s[0:1], s[0:1], exec
	s_and_b64 s[8:9], vcc, exec
	v_pk_mov_b32 v[4:5], 0, 0
	s_or_b64 s[0:1], s[0:1], s[8:9]
	s_or_b64 exec, exec, s[10:11]
	s_and_saveexec_b64 s[8:9], s[0:1]
	s_cbranch_execnz .LBB9_194
	s_branch .LBB9_195
.LBB9_214:
	s_mov_b64 s[2:3], -1
                                        ; implicit-def: $vgpr4_vgpr5
.LBB9_215:
	s_mov_b64 s[8:9], 0
.LBB9_216:
	s_and_b64 vcc, exec, s[8:9]
	s_cbranch_vccz .LBB9_220
; %bb.217:
	v_cmp_eq_u16_e32 vcc, 11, v6
	s_cbranch_vccz .LBB9_219
; %bb.218:
	global_load_ubyte v3, v[0:1], off
	v_mov_b32_e32 v5, 0x3ff00000
	v_mov_b32_e32 v4, 0
	s_mov_b64 s[0:1], -1
	s_mov_b64 s[2:3], 0
	s_waitcnt vmcnt(0)
	v_cmp_ne_u16_e32 vcc, 0, v3
	v_cndmask_b32_e32 v5, 0, v5, vcc
	s_branch .LBB9_220
.LBB9_219:
	s_mov_b64 s[2:3], -1
                                        ; implicit-def: $vgpr4_vgpr5
.LBB9_220:
	s_branch .LBB9_25
.LBB9_221:
	v_cmp_gt_i16_e32 vcc, 5, v6
	s_cbranch_vccnz .LBB9_226
; %bb.222:
	v_cmp_gt_i16_e32 vcc, 8, v6
	s_cbranch_vccnz .LBB9_227
; %bb.223:
	;; [unrolled: 3-line block ×3, first 2 shown]
	v_cmp_lt_i16_e32 vcc, 9, v6
	s_cbranch_vccz .LBB9_229
; %bb.225:
	global_load_dwordx2 v[4:5], v[0:1], off
	s_mov_b64 s[0:1], 0
	s_branch .LBB9_230
.LBB9_226:
                                        ; implicit-def: $vgpr4_vgpr5
	s_branch .LBB9_248
.LBB9_227:
	s_mov_b64 s[0:1], -1
                                        ; implicit-def: $vgpr4_vgpr5
	s_branch .LBB9_236
.LBB9_228:
	s_mov_b64 s[0:1], -1
                                        ; implicit-def: $vgpr4_vgpr5
	s_branch .LBB9_233
.LBB9_229:
	s_mov_b64 s[0:1], -1
                                        ; implicit-def: $vgpr4_vgpr5
.LBB9_230:
	s_andn2_b64 vcc, exec, s[0:1]
	s_cbranch_vccnz .LBB9_232
; %bb.231:
	global_load_dword v3, v[0:1], off
	s_waitcnt vmcnt(0)
	v_cvt_f64_f32_e32 v[4:5], v3
.LBB9_232:
	s_mov_b64 s[0:1], 0
.LBB9_233:
	s_andn2_b64 vcc, exec, s[0:1]
	s_cbranch_vccnz .LBB9_235
; %bb.234:
	global_load_dword v3, v[0:1], off
	s_waitcnt vmcnt(0)
	v_cvt_f32_f16_e32 v3, v3
	v_cvt_f64_f32_e32 v[4:5], v3
.LBB9_235:
	s_mov_b64 s[0:1], 0
.LBB9_236:
	s_andn2_b64 vcc, exec, s[0:1]
	s_cbranch_vccnz .LBB9_247
; %bb.237:
	v_cmp_gt_i16_e32 vcc, 6, v6
	s_cbranch_vccnz .LBB9_240
; %bb.238:
	v_cmp_lt_i16_e32 vcc, 6, v6
	s_cbranch_vccz .LBB9_241
; %bb.239:
	global_load_dwordx2 v[4:5], v[0:1], off
	s_mov_b64 s[0:1], 0
	s_branch .LBB9_242
.LBB9_240:
	s_mov_b64 s[0:1], -1
                                        ; implicit-def: $vgpr4_vgpr5
	s_branch .LBB9_245
.LBB9_241:
	s_mov_b64 s[0:1], -1
                                        ; implicit-def: $vgpr4_vgpr5
.LBB9_242:
	s_andn2_b64 vcc, exec, s[0:1]
	s_cbranch_vccnz .LBB9_244
; %bb.243:
	global_load_dword v3, v[0:1], off
	s_waitcnt vmcnt(0)
	v_cvt_f64_f32_e32 v[4:5], v3
.LBB9_244:
	s_mov_b64 s[0:1], 0
.LBB9_245:
	s_andn2_b64 vcc, exec, s[0:1]
	s_cbranch_vccnz .LBB9_247
; %bb.246:
	global_load_ushort v3, v[0:1], off
	s_waitcnt vmcnt(0)
	v_cvt_f32_f16_e32 v3, v3
	v_cvt_f64_f32_e32 v[4:5], v3
.LBB9_247:
	s_cbranch_execnz .LBB9_267
.LBB9_248:
	v_cmp_gt_i16_e32 vcc, 2, v6
	s_cbranch_vccnz .LBB9_252
; %bb.249:
	v_cmp_gt_i16_e32 vcc, 3, v6
	s_cbranch_vccnz .LBB9_253
; %bb.250:
	v_cmp_lt_i16_e32 vcc, 3, v6
	s_cbranch_vccz .LBB9_254
; %bb.251:
	global_load_dwordx2 v[4:5], v[0:1], off
	s_mov_b64 s[0:1], 0
	s_waitcnt vmcnt(0)
	v_cvt_f64_i32_e32 v[10:11], v5
	v_cvt_f64_u32_e32 v[4:5], v4
	v_ldexp_f64 v[10:11], v[10:11], 32
	v_add_f64 v[4:5], v[10:11], v[4:5]
	s_branch .LBB9_255
.LBB9_252:
	s_mov_b64 s[0:1], -1
                                        ; implicit-def: $vgpr4_vgpr5
	s_branch .LBB9_261
.LBB9_253:
	s_mov_b64 s[0:1], -1
                                        ; implicit-def: $vgpr4_vgpr5
	s_branch .LBB9_258
.LBB9_254:
	s_mov_b64 s[0:1], -1
                                        ; implicit-def: $vgpr4_vgpr5
.LBB9_255:
	s_andn2_b64 vcc, exec, s[0:1]
	s_cbranch_vccnz .LBB9_257
; %bb.256:
	global_load_dword v3, v[0:1], off
	s_waitcnt vmcnt(0)
	v_cvt_f64_i32_e32 v[4:5], v3
.LBB9_257:
	s_mov_b64 s[0:1], 0
.LBB9_258:
	s_andn2_b64 vcc, exec, s[0:1]
	s_cbranch_vccnz .LBB9_260
; %bb.259:
	global_load_sshort v3, v[0:1], off
	s_waitcnt vmcnt(0)
	v_cvt_f64_i32_e32 v[4:5], v3
.LBB9_260:
	s_mov_b64 s[0:1], 0
.LBB9_261:
	s_andn2_b64 vcc, exec, s[0:1]
	s_cbranch_vccnz .LBB9_267
; %bb.262:
	v_cmp_lt_i16_e32 vcc, 0, v6
	s_cbranch_vccz .LBB9_264
; %bb.263:
	global_load_sbyte v3, v[0:1], off
	s_mov_b64 s[0:1], 0
	s_waitcnt vmcnt(0)
	v_cvt_f64_i32_e32 v[4:5], v3
	s_branch .LBB9_265
.LBB9_264:
	s_mov_b64 s[0:1], -1
                                        ; implicit-def: $vgpr4_vgpr5
.LBB9_265:
	s_andn2_b64 vcc, exec, s[0:1]
	s_cbranch_vccnz .LBB9_267
; %bb.266:
	global_load_ubyte v0, v[0:1], off
	s_waitcnt vmcnt(0)
	v_cvt_f64_u32_e32 v[4:5], v0
.LBB9_267:
	s_branch .LBB9_26
.LBB9_268:
	s_mov_b64 s[0:1], 0
.LBB9_269:
	s_mov_b64 s[8:9], 0
                                        ; implicit-def: $vgpr9
.LBB9_270:
	s_and_b64 s[52:53], s[0:1], exec
	s_and_b64 s[54:55], s[2:3], exec
	s_orn2_b64 s[2:3], s[8:9], exec
.LBB9_271:
	s_or_b64 exec, exec, s[56:57]
	s_mov_b64 s[10:11], 0
	s_mov_b64 s[0:1], 0
                                        ; implicit-def: $vgpr0_vgpr1
                                        ; implicit-def: $vgpr2
                                        ; implicit-def: $vgpr4_vgpr5
	s_and_saveexec_b64 s[56:57], s[2:3]
	s_cbranch_execz .LBB9_279
; %bb.272:
	v_cmp_gt_i32_e32 vcc, s72, v9
	s_mov_b64 s[0:1], -1
	s_mov_b64 s[58:59], s[54:55]
	s_mov_b64 s[60:61], s[52:53]
	s_and_saveexec_b64 s[62:63], vcc
	s_cbranch_execz .LBB9_552
; %bb.273:
	s_andn2_b64 vcc, exec, s[40:41]
	s_cbranch_vccnz .LBB9_282
; %bb.274:
	s_mov_b32 s58, 0
	s_andn2_b64 vcc, exec, s[50:51]
	v_mov_b32_e32 v0, 0
	v_mov_b32_e32 v2, 0
	s_cbranch_vccnz .LBB9_288
; %bb.275:
	s_add_i32 s66, s73, 1
	s_cmp_eq_u32 s74, 2
	s_cbranch_scc1 .LBB9_283
; %bb.276:
	s_and_b32 s58, s66, 28
	s_mov_b32 s59, 0
	v_mov_b32_e32 v2, 0
	s_mov_b64 s[60:61], s[34:35]
	s_mov_b64 s[64:65], s[48:49]
	v_mov_b32_e32 v1, v9
	v_mov_b32_e32 v0, 0
.LBB9_277:                              ; =>This Inner Loop Header: Depth=1
	s_load_dwordx8 s[16:23], s[60:61], 0x4
	s_load_dwordx4 s[0:3], s[60:61], 0x24
	s_load_dwordx8 s[8:15], s[64:65], 0x0
	s_add_u32 s60, s60, 48
	s_addc_u32 s61, s61, 0
	s_waitcnt lgkmcnt(0)
	v_mul_hi_u32 v3, s17, v1
	v_add_u32_e32 v3, v1, v3
	v_lshrrev_b32_e32 v3, s18, v3
	s_waitcnt vmcnt(0)
	v_mul_lo_u32 v4, v3, s16
	v_mul_hi_u32 v5, s20, v3
	v_sub_u32_e32 v1, v1, v4
	v_add_u32_e32 v4, v3, v5
	v_lshrrev_b32_e32 v4, s21, v4
	v_mul_lo_u32 v7, v4, s19
	v_mul_hi_u32 v10, s23, v4
	v_sub_u32_e32 v3, v3, v7
	v_add_u32_e32 v7, v4, v10
	v_mul_lo_u32 v5, v1, s9
	v_mul_lo_u32 v1, v1, s8
	;; [unrolled: 1-line block ×4, first 2 shown]
	v_lshrrev_b32_e32 v7, s0, v7
	v_add3_u32 v2, v1, v2, v3
	v_mul_lo_u32 v1, v7, s22
	v_mul_hi_u32 v3, s2, v7
	v_sub_u32_e32 v1, v4, v1
	v_add_u32_e32 v3, v7, v3
	v_add3_u32 v0, v5, v0, v10
	v_mul_lo_u32 v4, v1, s12
	v_mul_lo_u32 v5, v1, s13
	v_lshrrev_b32_e32 v1, s3, v3
	s_add_i32 s59, s59, 4
	v_mul_lo_u32 v3, v1, s1
	s_add_u32 s64, s64, 32
	v_sub_u32_e32 v3, v7, v3
	s_addc_u32 s65, s65, 0
	v_mul_lo_u32 v7, v3, s14
	v_mul_lo_u32 v3, v3, s15
	s_cmp_eq_u32 s58, s59
	v_add3_u32 v0, v5, v0, v3
	v_add3_u32 v2, v4, v2, v7
	s_cbranch_scc0 .LBB9_277
; %bb.278:
	v_mov_b32_e32 v3, v0
	s_branch .LBB9_284
.LBB9_279:
	s_or_b64 exec, exec, s[56:57]
	s_mov_b64 s[2:3], 0
	s_and_saveexec_b64 s[8:9], s[54:55]
	s_cbranch_execnz .LBB9_934
.LBB9_280:
	s_or_b64 exec, exec, s[8:9]
	s_and_saveexec_b64 s[8:9], s[60:61]
	s_xor_b64 s[8:9], exec, s[8:9]
	s_cbranch_execz .LBB9_935
.LBB9_281:
	global_load_ubyte v3, v[0:1], off
	s_waitcnt vmcnt(1)
	v_mov_b32_e32 v5, 0x3ff00000
	v_mov_b32_e32 v4, 0
	s_or_b64 s[0:1], s[0:1], exec
	s_waitcnt vmcnt(0)
	v_cmp_ne_u16_e32 vcc, 0, v3
	v_cndmask_b32_e32 v5, 0, v5, vcc
	s_or_b64 exec, exec, s[8:9]
	s_and_saveexec_b64 s[8:9], s[10:11]
	s_cbranch_execz .LBB9_981
	s_branch .LBB9_936
.LBB9_282:
                                        ; implicit-def: $vgpr0
                                        ; implicit-def: $vgpr2
	s_andn2_b64 vcc, exec, s[0:1]
	s_cbranch_vccz .LBB9_289
	s_branch .LBB9_291
.LBB9_283:
	s_mov_b32 s59, s58
	v_pk_mov_b32 v[2:3], s[58:59], s[58:59] op_sel:[0,1]
                                        ; implicit-def: $vgpr0
	v_mov_b32_e32 v1, v9
.LBB9_284:
	s_and_b32 s8, s66, 3
	s_cmp_eq_u32 s8, 0
	s_cbranch_scc1 .LBB9_288
; %bb.285:
	s_lshl_b32 s0, s58, 3
	s_add_u32 s0, s0, s34
	s_addc_u32 s1, s35, 0
	s_add_u32 s0, s0, 0xc4
	s_addc_u32 s1, s1, 0
	s_mul_i32 s2, s58, 12
	s_add_u32 s2, s34, s2
	s_addc_u32 s3, s35, 0
.LBB9_286:                              ; =>This Inner Loop Header: Depth=1
	s_load_dwordx2 s[10:11], s[2:3], 0x4
	s_load_dword s9, s[2:3], 0xc
	s_load_dwordx2 s[12:13], s[0:1], 0x0
	v_mov_b32_e32 v0, v3
	s_add_u32 s2, s2, 12
	s_waitcnt lgkmcnt(0)
	v_mul_hi_u32 v3, s11, v1
	v_add_u32_e32 v3, v1, v3
	v_lshrrev_b32_e32 v3, s9, v3
	s_addc_u32 s3, s3, 0
	s_waitcnt vmcnt(0)
	v_mul_lo_u32 v4, v3, s10
	s_add_u32 s0, s0, 8
	v_sub_u32_e32 v7, v1, v4
	v_mov_b32_e32 v1, v3
	s_addc_u32 s1, s1, 0
	s_add_i32 s8, s8, -1
	v_mad_u64_u32 v[4:5], s[10:11], v7, s13, v[0:1]
	v_mad_u64_u32 v[2:3], s[10:11], v7, s12, v[2:3]
	s_cmp_lg_u32 s8, 0
	v_mov_b32_e32 v3, v4
	s_cbranch_scc1 .LBB9_286
; %bb.287:
	v_mov_b32_e32 v0, v3
.LBB9_288:
	s_cbranch_execnz .LBB9_291
.LBB9_289:
	s_waitcnt lgkmcnt(0)
	v_mul_hi_u32 v0, s37, v9
	v_add_u32_e32 v0, v9, v0
	v_lshrrev_b32_e32 v1, s38, v0
	v_mul_lo_u32 v0, v1, s36
	v_sub_u32_e32 v2, v9, v0
	v_mul_lo_u32 v0, v2, s29
	s_andn2_b64 vcc, exec, s[46:47]
	v_mul_lo_u32 v2, v2, s28
	s_cbranch_vccnz .LBB9_291
; %bb.290:
	v_mul_hi_u32 v3, s44, v1
	v_add_u32_e32 v3, v1, v3
	v_lshrrev_b32_e32 v3, s45, v3
	v_mul_lo_u32 v3, v3, s39
	v_sub_u32_e32 v1, v1, v3
	v_mad_u64_u32 v[2:3], s[0:1], v1, s30, v[2:3]
	v_mad_u64_u32 v[0:1], s[0:1], v1, s31, v[0:1]
.LBB9_291:
	s_waitcnt lgkmcnt(0)
	v_mov_b32_e32 v1, s27
	v_add_co_u32_e32 v0, vcc, s26, v0
	v_addc_co_u32_e32 v1, vcc, 0, v1, vcc
	v_cmp_gt_i16_e32 vcc, 11, v6
	s_cbranch_vccnz .LBB9_298
; %bb.292:
	v_cmp_lt_i16_e32 vcc, 25, v6
	s_cbranch_vccz .LBB9_311
; %bb.293:
	v_cmp_lt_i16_e32 vcc, 28, v6
	s_cbranch_vccz .LBB9_313
	;; [unrolled: 3-line block ×4, first 2 shown]
; %bb.296:
	v_cmp_eq_u16_e32 vcc, 46, v6
	s_mov_b64 s[8:9], 0
	s_cbranch_vccz .LBB9_323
; %bb.297:
	global_load_dword v3, v[0:1], off
	s_mov_b64 s[0:1], -1
	s_mov_b64 s[2:3], 0
	s_waitcnt vmcnt(0)
	v_lshlrev_b32_e32 v3, 16, v3
	v_cvt_f64_f32_e32 v[4:5], v3
	s_branch .LBB9_324
.LBB9_298:
	s_mov_b64 s[0:1], 0
                                        ; implicit-def: $vgpr4_vgpr5
	s_mov_b64 s[2:3], s[54:55]
	s_cbranch_execnz .LBB9_501
.LBB9_299:
	s_andn2_b64 vcc, exec, s[0:1]
	s_cbranch_vccnz .LBB9_549
.LBB9_300:
	s_mov_b32 s0, 0
	s_mov_b32 s1, 0x40200000
	s_waitcnt vmcnt(0)
	v_cmp_le_f64_e64 s[0:1], |v[4:5]|, s[0:1]
                                        ; implicit-def: $vgpr0_vgpr1
	s_and_saveexec_b64 s[8:9], s[0:1]
	s_xor_b64 s[0:1], exec, s[8:9]
	s_cbranch_execz .LBB9_302
; %bb.301:
	s_mov_b32 s8, 0x2134d0ef
	v_fma_f64 v[0:1], |v[4:5]|, 0.5, -2.0
	v_mov_b32_e32 v10, 0x977da589
	v_mov_b32_e32 v11, 0x3c833362
	s_mov_b32 s9, 0xbc545cb7
	v_fmac_f64_e32 v[10:11], s[8:9], v[0:1]
	v_mov_b32_e32 v12, 0x2134d0ef
	v_mov_b32_e32 v13, 0x3c545cb7
	s_mov_b32 s8, 0x721ebbb4
	v_fmac_f64_e32 v[12:13], v[0:1], v[10:11]
	s_mov_b32 s9, 0xbcb184eb
	v_add_f64 v[12:13], v[12:13], s[8:9]
	s_mov_b32 s8, 0x93f65eba
	v_fma_f64 v[10:11], v[0:1], v[12:13], -v[10:11]
	s_mov_b32 s9, 0x3cdee6d8
	v_add_f64 v[10:11], v[10:11], s[8:9]
	s_mov_b32 s8, 0xc297fbeb
	v_fma_f64 v[12:13], v[0:1], v[10:11], -v[12:13]
	;; [unrolled: 4-line block ×27, first 2 shown]
	s_mov_b32 s9, 0x3fe5a84e
	v_add_f64 v[0:1], v[0:1], s[8:9]
	s_mov_b32 s8, 0x652b82fe
	s_mov_b32 s9, 0x3ff71547
	v_mul_f64 v[12:13], |v[4:5]|, s[8:9]
	s_mov_b32 s8, 0xfefa39ef
	v_rndne_f64_e32 v[12:13], v[12:13]
	s_mov_b32 s9, 0xbfe62e42
	v_fma_f64 v[14:15], v[12:13], s[8:9], |v[4:5]|
	s_mov_b32 s8, 0x3b39803f
	s_mov_b32 s9, 0xbc7abc9e
	v_fmac_f64_e32 v[14:15], s[8:9], v[12:13]
	s_mov_b32 s8, 0x6a5dcb37
	v_mov_b32_e32 v16, 0xfca7ab0c
	v_mov_b32_e32 v17, 0x3e928af3
	s_mov_b32 s9, 0x3e5ade15
	v_fmac_f64_e32 v[16:17], s[8:9], v[14:15]
	v_mov_b32_e32 v18, 0x623fde64
	v_mov_b32_e32 v19, 0x3ec71dee
	v_fmac_f64_e32 v[18:19], v[14:15], v[16:17]
	v_mov_b32_e32 v16, 0x7c89e6b0
	v_mov_b32_e32 v17, 0x3efa0199
	;; [unrolled: 3-line block ×8, first 2 shown]
	v_fmac_f64_e32 v[16:17], v[14:15], v[18:19]
	v_fma_f64 v[16:17], v[14:15], v[16:17], 1.0
	s_mov_b32 s8, 0
	v_fma_f64 v[14:15], v[14:15], v[16:17], 1.0
	v_cvt_i32_f64_e32 v3, v[12:13]
	s_mov_b32 s9, 0x40900000
	v_ldexp_f64 v[12:13], v[14:15], v3
	v_mov_b32_e32 v3, 0x7ff00000
	v_cmp_ngt_f64_e64 vcc, |v[4:5]|, s[8:9]
	v_add_f64 v[0:1], v[0:1], -v[10:11]
	v_cndmask_b32_e32 v5, v3, v13, vcc
	v_cndmask_b32_e32 v4, 0, v12, vcc
	v_mul_f64 v[0:1], v[0:1], 0.5
	v_mul_f64 v[0:1], v[4:5], v[0:1]
                                        ; implicit-def: $vgpr4_vgpr5
.LBB9_302:
	s_andn2_saveexec_b64 s[0:1], s[0:1]
	s_cbranch_execz .LBB9_304
; %bb.303:
	s_mov_b32 s8, 0
	v_and_b32_e32 v1, 0x7fffffff, v5
	v_mov_b32_e32 v0, v4
	s_mov_b32 s9, 0x40400000
	v_div_scale_f64 v[10:11], s[10:11], v[0:1], v[0:1], s[8:9]
	v_rcp_f64_e32 v[12:13], v[10:11]
	v_div_scale_f64 v[0:1], vcc, s[8:9], v[0:1], s[8:9]
	v_mov_b32_e32 v16, 0xfca7ab0c
	v_fma_f64 v[14:15], -v[10:11], v[12:13], 1.0
	v_fmac_f64_e32 v[12:13], v[12:13], v[14:15]
	v_fma_f64 v[14:15], -v[10:11], v[12:13], 1.0
	v_fmac_f64_e32 v[12:13], v[12:13], v[14:15]
	v_mul_f64 v[14:15], v[0:1], v[12:13]
	v_fma_f64 v[0:1], -v[10:11], v[14:15], v[0:1]
	v_div_fmas_f64 v[0:1], v[0:1], v[12:13], v[14:15]
	v_div_fixup_f64 v[0:1], v[0:1], |v[4:5]|, s[8:9]
	s_mov_b32 s8, 0x54ca8b19
	v_add_f64 v[0:1], v[0:1], -2.0
	v_mov_b32_e32 v10, 0x66119130
	v_mov_b32_e32 v11, 0xbc5646da
	s_mov_b32 s9, 0xbc60adb7
	v_fmac_f64_e32 v[10:11], s[8:9], v[0:1]
	v_mov_b32_e32 v12, 0x54ca8b19
	v_mov_b32_e32 v13, 0x3c60adb7
	s_mov_b32 s8, 0x12d98421
	v_fmac_f64_e32 v[12:13], v[0:1], v[10:11]
	s_mov_b32 s9, 0x3c89be18
	v_add_f64 v[12:13], v[12:13], s[8:9]
	s_mov_b32 s8, 0x76041cd
	v_fma_f64 v[10:11], v[0:1], v[12:13], -v[10:11]
	s_mov_b32 s9, 0x3c83f3dd
	v_add_f64 v[10:11], v[10:11], s[8:9]
	s_mov_b32 s8, 0xabd21fe4
	v_fma_f64 v[12:13], v[0:1], v[10:11], -v[12:13]
	;; [unrolled: 4-line block ×22, first 2 shown]
	s_mov_b32 s9, 0x3fe9be62
	v_add_f64 v[0:1], v[0:1], s[8:9]
	s_mov_b32 s8, 0x652b82fe
	s_mov_b32 s9, 0x3ff71547
	v_mul_f64 v[10:11], |v[4:5]|, s[8:9]
	s_mov_b32 s8, 0xfefa39ef
	v_rndne_f64_e32 v[10:11], v[10:11]
	s_mov_b32 s9, 0xbfe62e42
	v_fma_f64 v[14:15], v[10:11], s[8:9], |v[4:5]|
	s_mov_b32 s8, 0x3b39803f
	s_mov_b32 s9, 0xbc7abc9e
	v_fmac_f64_e32 v[14:15], s[8:9], v[10:11]
	s_mov_b32 s8, 0x6a5dcb37
	v_mov_b32_e32 v17, 0x3e928af3
	s_mov_b32 s9, 0x3e5ade15
	v_fmac_f64_e32 v[16:17], s[8:9], v[14:15]
	v_mov_b32_e32 v18, 0x623fde64
	v_mov_b32_e32 v19, 0x3ec71dee
	v_fmac_f64_e32 v[18:19], v[14:15], v[16:17]
	v_mov_b32_e32 v16, 0x7c89e6b0
	v_mov_b32_e32 v17, 0x3efa0199
	;; [unrolled: 3-line block ×8, first 2 shown]
	v_fmac_f64_e32 v[16:17], v[14:15], v[18:19]
	s_mov_b32 s8, 0
	v_fma_f64 v[16:17], v[14:15], v[16:17], 1.0
	s_mov_b32 s9, 0x40900000
	v_fma_f64 v[14:15], v[14:15], v[16:17], 1.0
	v_cvt_i32_f64_e32 v3, v[10:11]
	v_cmp_ngt_f64_e64 vcc, |v[4:5]|, s[8:9]
	s_mov_b32 s8, 0
	v_ldexp_f64 v[10:11], v[14:15], v3
	v_mov_b32_e32 v3, 0x7ff00000
	s_brev_b32 s9, 8
	v_cndmask_b32_e32 v11, v3, v11, vcc
	v_cndmask_b32_e32 v10, 0, v10, vcc
	v_cmp_lt_f64_e64 vcc, |v[4:5]|, s[8:9]
	v_cndmask_b32_e64 v3, 0, 1, vcc
	v_lshlrev_b32_e32 v3, 8, v3
	v_ldexp_f64 v[4:5], |v[4:5]|, v3
	v_rsq_f64_e32 v[14:15], v[4:5]
	v_add_f64 v[0:1], v[0:1], -v[12:13]
	v_mul_f64 v[0:1], v[0:1], 0.5
	v_mul_f64 v[0:1], v[10:11], v[0:1]
	v_mul_f64 v[10:11], v[4:5], v[14:15]
	v_mul_f64 v[12:13], v[14:15], 0.5
	v_fma_f64 v[14:15], -v[12:13], v[10:11], 0.5
	v_fmac_f64_e32 v[10:11], v[10:11], v[14:15]
	v_fma_f64 v[16:17], -v[10:11], v[10:11], v[4:5]
	v_fmac_f64_e32 v[12:13], v[12:13], v[14:15]
	v_fmac_f64_e32 v[10:11], v[16:17], v[12:13]
	v_fma_f64 v[14:15], -v[10:11], v[10:11], v[4:5]
	v_mov_b32_e32 v3, 0xffffff80
	v_fmac_f64_e32 v[10:11], v[14:15], v[12:13]
	v_cndmask_b32_e32 v3, 0, v3, vcc
	v_ldexp_f64 v[10:11], v[10:11], v3
	v_mov_b32_e32 v3, 0x260
	v_cmp_class_f64_e32 vcc, v[4:5], v3
	v_cndmask_b32_e32 v5, v11, v5, vcc
	v_cndmask_b32_e32 v4, v10, v4, vcc
	v_div_scale_f64 v[10:11], s[8:9], v[4:5], v[4:5], v[0:1]
	v_rcp_f64_e32 v[12:13], v[10:11]
	v_fma_f64 v[14:15], -v[10:11], v[12:13], 1.0
	v_fmac_f64_e32 v[12:13], v[12:13], v[14:15]
	v_fma_f64 v[14:15], -v[10:11], v[12:13], 1.0
	v_fmac_f64_e32 v[12:13], v[12:13], v[14:15]
	v_div_scale_f64 v[14:15], vcc, v[0:1], v[4:5], v[0:1]
	v_mul_f64 v[16:17], v[14:15], v[12:13]
	v_fma_f64 v[10:11], -v[10:11], v[16:17], v[14:15]
	s_nop 1
	v_div_fmas_f64 v[10:11], v[10:11], v[12:13], v[16:17]
	v_div_fixup_f64 v[0:1], v[10:11], v[4:5], v[0:1]
.LBB9_304:
	s_or_b64 exec, exec, s[0:1]
	v_mov_b32_e32 v3, s25
	v_add_co_u32_e32 v4, vcc, s24, v2
	v_mov_b32_e32 v2, 11
	v_addc_co_u32_e32 v5, vcc, 0, v3, vcc
	v_cmp_lt_i16_sdwa s[0:1], v8, v2 src0_sel:BYTE_0 src1_sel:DWORD
	s_and_b64 vcc, exec, s[0:1]
	s_cbranch_vccnz .LBB9_312
; %bb.305:
	v_mov_b32_e32 v2, 25
	v_cmp_gt_i16_sdwa s[0:1], v8, v2 src0_sel:BYTE_0 src1_sel:DWORD
	s_and_b64 vcc, exec, s[0:1]
	s_cbranch_vccz .LBB9_314
; %bb.306:
	v_mov_b32_e32 v2, 28
	v_cmp_gt_i16_sdwa s[0:1], v8, v2 src0_sel:BYTE_0 src1_sel:DWORD
	s_and_b64 vcc, exec, s[0:1]
	s_cbranch_vccz .LBB9_316
	;; [unrolled: 5-line block ×4, first 2 shown]
; %bb.309:
	v_mov_b32_e32 v2, 46
	v_cmp_eq_u16_sdwa s[8:9], v8, v2 src0_sel:BYTE_0 src1_sel:DWORD
	s_mov_b64 s[10:11], 0
	s_mov_b64 s[0:1], -1
	s_and_b64 vcc, exec, s[8:9]
	s_mov_b64 s[8:9], 0
	s_cbranch_vccz .LBB9_328
; %bb.310:
	v_cvt_f32_f64_e32 v2, v[0:1]
	v_bfe_u32 v3, v2, 16, 1
	s_movk_i32 s0, 0x7fff
	v_add3_u32 v3, v2, v3, s0
	v_lshrrev_b32_e32 v3, 16, v3
	v_mov_b32_e32 v7, 0x7fc0
	v_cmp_o_f32_e32 vcc, v2, v2
	v_cndmask_b32_e32 v2, v7, v3, vcc
	global_store_dword v[4:5], v2, off
	s_mov_b64 s[8:9], -1
	s_mov_b64 s[0:1], 0
	s_branch .LBB9_328
.LBB9_311:
	s_mov_b64 s[8:9], -1
	s_mov_b64 s[0:1], 0
	s_mov_b64 s[2:3], s[54:55]
                                        ; implicit-def: $vgpr4_vgpr5
	s_branch .LBB9_465
.LBB9_312:
	s_mov_b64 s[10:11], -1
	s_mov_b64 s[8:9], 0
	s_mov_b64 s[0:1], s[52:53]
	s_branch .LBB9_397
.LBB9_313:
	s_mov_b64 s[8:9], -1
	s_mov_b64 s[0:1], 0
	s_mov_b64 s[2:3], s[54:55]
                                        ; implicit-def: $vgpr4_vgpr5
	s_branch .LBB9_446
.LBB9_314:
	s_mov_b64 s[10:11], -1
	s_mov_b64 s[8:9], 0
	s_mov_b64 s[0:1], s[52:53]
	s_branch .LBB9_355
.LBB9_315:
	s_mov_b64 s[8:9], -1
	s_mov_b64 s[0:1], 0
	s_mov_b64 s[2:3], s[54:55]
                                        ; implicit-def: $vgpr4_vgpr5
	s_branch .LBB9_441
.LBB9_316:
	s_mov_b64 s[10:11], -1
	s_mov_b64 s[8:9], 0
	s_mov_b64 s[0:1], s[52:53]
	s_branch .LBB9_338
.LBB9_317:
	s_or_saveexec_b64 s[12:13], s[12:13]
                                        ; implicit-def: $sgpr14
	s_xor_b64 exec, exec, s[12:13]
	s_cbranch_execz .LBB9_73
.LBB9_318:
	s_mov_b32 s14, 0x46000000
	v_add_f32_e64 v3, |v2|, s14
	v_and_b32_e32 v3, 0xff, v3
	v_cmp_ne_u32_e32 vcc, 0, v3
	s_andn2_b64 s[10:11], s[10:11], exec
	s_and_b64 s[16:17], vcc, exec
	s_mov_b32 s14, 0
	s_or_b64 s[10:11], s[10:11], s[16:17]
	s_or_b64 exec, exec, s[12:13]
	v_mov_b32_e32 v7, s14
	s_and_saveexec_b64 s[12:13], s[10:11]
	s_cbranch_execnz .LBB9_74
	s_branch .LBB9_75
.LBB9_319:
	s_mov_b64 s[8:9], -1
	s_mov_b64 s[0:1], 0
	s_mov_b64 s[2:3], s[54:55]
                                        ; implicit-def: $vgpr4_vgpr5
	s_branch .LBB9_324
.LBB9_320:
	s_mov_b64 s[10:11], -1
	s_mov_b64 s[8:9], 0
	s_mov_b64 s[0:1], s[52:53]
	s_branch .LBB9_334
.LBB9_321:
	s_or_saveexec_b64 s[12:13], s[12:13]
                                        ; implicit-def: $sgpr14
	s_xor_b64 exec, exec, s[12:13]
	s_cbranch_execz .LBB9_86
.LBB9_322:
	s_mov_b32 s14, 0x42800000
	v_add_f32_e64 v3, |v2|, s14
	v_and_b32_e32 v3, 0xff, v3
	v_cmp_ne_u32_e32 vcc, 0, v3
	s_andn2_b64 s[10:11], s[10:11], exec
	s_and_b64 s[16:17], vcc, exec
	s_mov_b32 s14, 0
	s_or_b64 s[10:11], s[10:11], s[16:17]
	s_or_b64 exec, exec, s[12:13]
	v_mov_b32_e32 v7, s14
	s_and_saveexec_b64 s[12:13], s[10:11]
	s_cbranch_execnz .LBB9_87
	s_branch .LBB9_88
.LBB9_323:
	s_mov_b64 s[2:3], -1
                                        ; implicit-def: $vgpr4_vgpr5
	s_mov_b64 s[0:1], 0
.LBB9_324:
	s_and_b64 vcc, exec, s[8:9]
	s_cbranch_vccz .LBB9_440
; %bb.325:
	v_cmp_eq_u16_e32 vcc, 44, v6
	s_cbranch_vccz .LBB9_439
; %bb.326:
	global_load_ubyte v3, v[0:1], off
	s_movk_i32 s2, 0xff
	v_bfrev_b32_e32 v7, 4
	v_mov_b32_e32 v10, 0x7ff80000
	v_bfrev_b32_e32 v11, 28
	s_mov_b64 s[0:1], -1
	s_waitcnt vmcnt(0)
	v_lshlrev_b32_e32 v4, 23, v3
	v_cvt_f64_f32_e32 v[4:5], v4
	v_cmp_ne_u32_e32 vcc, s2, v3
	v_cndmask_b32_e32 v4, v7, v4, vcc
	v_cndmask_b32_e32 v5, v10, v5, vcc
	v_cmp_ne_u32_e32 vcc, 0, v3
	v_cndmask_b32_e32 v5, v11, v5, vcc
	v_cndmask_b32_e32 v4, 0, v4, vcc
	s_mov_b64 s[2:3], 0
	s_branch .LBB9_440
.LBB9_327:
	s_mov_b64 s[10:11], -1
	s_mov_b64 s[8:9], 0
	s_mov_b64 s[0:1], s[52:53]
.LBB9_328:
	s_and_b64 vcc, exec, s[10:11]
	s_cbranch_vccz .LBB9_333
; %bb.329:
	v_mov_b32_e32 v2, 44
	v_cmp_eq_u16_sdwa s[10:11], v8, v2 src0_sel:BYTE_0 src1_sel:DWORD
	s_mov_b64 s[0:1], -1
	s_and_b64 vcc, exec, s[10:11]
	s_cbranch_vccz .LBB9_333
; %bb.330:
	v_cvt_f32_f64_e32 v2, v[0:1]
	v_bfe_u32 v3, v2, 23, 8
	s_movk_i32 s0, 0xff
	v_cmp_ne_u32_e32 vcc, s0, v3
	v_mov_b32_e32 v7, 0xff
	s_and_saveexec_b64 s[8:9], vcc
; %bb.331:
	s_mov_b32 s0, 0x3fffff
	v_lshrrev_b32_e32 v7, 23, v2
	v_and_b32_e32 v10, 0x400000, v2
	v_and_or_b32 v2, v2, s0, v3
	v_cmp_ne_u32_e32 vcc, 0, v10
	v_cmp_ne_u32_e64 s[0:1], 0, v2
	s_and_b64 s[0:1], vcc, s[0:1]
	v_cndmask_b32_e64 v2, 0, 1, s[0:1]
	v_add_u32_e32 v7, v7, v2
; %bb.332:
	s_or_b64 exec, exec, s[8:9]
	s_mov_b64 s[8:9], -1
	s_mov_b64 s[0:1], 0
	global_store_byte v[4:5], v7, off
.LBB9_333:
	s_mov_b64 s[10:11], 0
.LBB9_334:
	s_and_b64 vcc, exec, s[10:11]
	s_cbranch_vccz .LBB9_337
; %bb.335:
	v_mov_b32_e32 v2, 29
	v_cmp_eq_u16_sdwa s[10:11], v8, v2 src0_sel:BYTE_0 src1_sel:DWORD
	s_mov_b64 s[0:1], -1
	s_and_b64 vcc, exec, s[10:11]
	s_cbranch_vccz .LBB9_337
; %bb.336:
	v_trunc_f64_e32 v[2:3], v[0:1]
	s_movk_i32 s0, 0xffe0
	v_ldexp_f64 v[10:11], v[2:3], s0
	v_floor_f64_e32 v[10:11], v[10:11]
	v_fmac_f64_e32 v[2:3], 0xc1f00000, v[10:11]
	v_cvt_u32_f64_e32 v13, v[10:11]
	v_cvt_u32_f64_e32 v12, v[2:3]
	global_store_dwordx2 v[4:5], v[12:13], off
	s_mov_b64 s[8:9], -1
	s_mov_b64 s[0:1], 0
.LBB9_337:
	s_mov_b64 s[10:11], 0
.LBB9_338:
	s_and_b64 vcc, exec, s[10:11]
	s_cbranch_vccz .LBB9_354
; %bb.339:
	v_mov_b32_e32 v2, 27
	v_cmp_lt_i16_sdwa s[10:11], v8, v2 src0_sel:BYTE_0 src1_sel:DWORD
	s_mov_b64 s[8:9], -1
	s_and_b64 vcc, exec, s[10:11]
	s_cbranch_vccnz .LBB9_345
; %bb.340:
	v_cmp_gt_i16_sdwa s[10:11], v8, v2 src0_sel:BYTE_0 src1_sel:DWORD
	s_and_b64 vcc, exec, s[10:11]
	v_cvt_u32_f64_e32 v2, v[0:1]
	s_cbranch_vccz .LBB9_342
; %bb.341:
	s_mov_b64 s[8:9], 0
	global_store_dword v[4:5], v2, off
.LBB9_342:
	s_andn2_b64 vcc, exec, s[8:9]
	s_cbranch_vccnz .LBB9_344
; %bb.343:
	global_store_short v[4:5], v2, off
.LBB9_344:
	s_mov_b64 s[8:9], 0
.LBB9_345:
	s_andn2_b64 vcc, exec, s[8:9]
	s_cbranch_vccnz .LBB9_353
; %bb.346:
	v_cvt_f32_f64_e32 v2, v[0:1]
	v_and_b32_e32 v3, 0x7fffffff, v2
	s_mov_b32 s8, 0x43800000
	v_cmp_gt_u32_e32 vcc, s8, v3
	v_mov_b32_e32 v7, 0x80
	s_and_saveexec_b64 s[8:9], vcc
	s_cbranch_execz .LBB9_352
; %bb.347:
	s_mov_b32 s10, 0x3bffffff
	v_cmp_lt_u32_e32 vcc, s10, v3
	s_mov_b64 s[10:11], 0
                                        ; implicit-def: $vgpr3
	s_and_saveexec_b64 s[12:13], vcc
	s_xor_b64 s[12:13], exec, s[12:13]
	s_cbranch_execz .LBB9_581
; %bb.348:
	v_bfe_u32 v3, v2, 20, 1
	s_mov_b32 s14, 0x487ffff
	v_add3_u32 v3, v2, v3, s14
	s_mov_b64 s[10:11], exec
	v_lshrrev_b32_e32 v3, 20, v3
	s_or_saveexec_b64 s[12:13], s[12:13]
                                        ; implicit-def: $sgpr14
	s_xor_b64 exec, exec, s[12:13]
	s_cbranch_execnz .LBB9_582
.LBB9_349:
	s_or_b64 exec, exec, s[12:13]
	v_mov_b32_e32 v7, s14
	s_and_saveexec_b64 s[12:13], s[10:11]
.LBB9_350:
	v_lshrrev_b32_e32 v2, 24, v2
	s_movk_i32 s10, 0x80
	v_and_or_b32 v7, v2, s10, v3
.LBB9_351:
	s_or_b64 exec, exec, s[12:13]
.LBB9_352:
	s_or_b64 exec, exec, s[8:9]
	global_store_byte v[4:5], v7, off
.LBB9_353:
	s_mov_b64 s[8:9], -1
.LBB9_354:
	s_mov_b64 s[10:11], 0
.LBB9_355:
	s_and_b64 vcc, exec, s[10:11]
	s_cbranch_vccz .LBB9_396
; %bb.356:
	v_mov_b32_e32 v2, 22
	v_cmp_gt_i16_sdwa s[12:13], v8, v2 src0_sel:BYTE_0 src1_sel:DWORD
	s_mov_b64 s[10:11], -1
	s_and_b64 vcc, exec, s[12:13]
	s_cbranch_vccz .LBB9_388
; %bb.357:
	v_mov_b32_e32 v2, 24
	v_cmp_lt_i16_sdwa s[10:11], v8, v2 src0_sel:BYTE_0 src1_sel:DWORD
	s_mov_b64 s[8:9], -1
	s_and_b64 vcc, exec, s[10:11]
	s_cbranch_vccnz .LBB9_377
; %bb.358:
	v_cmp_gt_i16_sdwa s[10:11], v8, v2 src0_sel:BYTE_0 src1_sel:DWORD
	s_and_b64 vcc, exec, s[10:11]
	s_cbranch_vccz .LBB9_366
; %bb.359:
	v_cvt_f32_f64_e32 v2, v[0:1]
	v_and_b32_e32 v3, 0x7fffffff, v2
	s_mov_b32 s8, 0x47800000
	v_cmp_gt_u32_e32 vcc, s8, v3
	v_mov_b32_e32 v7, 0x80
	s_and_saveexec_b64 s[8:9], vcc
	s_cbranch_execz .LBB9_365
; %bb.360:
	s_mov_b32 s10, 0x37ffffff
	v_cmp_lt_u32_e32 vcc, s10, v3
	s_mov_b64 s[10:11], 0
                                        ; implicit-def: $vgpr3
	s_and_saveexec_b64 s[12:13], vcc
	s_xor_b64 s[12:13], exec, s[12:13]
	s_cbranch_execz .LBB9_584
; %bb.361:
	v_bfe_u32 v3, v2, 21, 1
	s_mov_b32 s14, 0x88fffff
	v_add3_u32 v3, v2, v3, s14
	s_mov_b64 s[10:11], exec
	v_lshrrev_b32_e32 v3, 21, v3
	s_or_saveexec_b64 s[12:13], s[12:13]
                                        ; implicit-def: $sgpr14
	s_xor_b64 exec, exec, s[12:13]
	s_cbranch_execnz .LBB9_585
.LBB9_362:
	s_or_b64 exec, exec, s[12:13]
	v_mov_b32_e32 v7, s14
	s_and_saveexec_b64 s[12:13], s[10:11]
.LBB9_363:
	v_lshrrev_b32_e32 v2, 24, v2
	s_movk_i32 s10, 0x80
	v_and_or_b32 v7, v2, s10, v3
.LBB9_364:
	s_or_b64 exec, exec, s[12:13]
.LBB9_365:
	s_or_b64 exec, exec, s[8:9]
	s_mov_b64 s[8:9], 0
	global_store_byte v[4:5], v7, off
.LBB9_366:
	s_and_b64 vcc, exec, s[8:9]
	s_cbranch_vccz .LBB9_376
; %bb.367:
	v_cvt_f32_f64_e32 v2, v[0:1]
	v_and_b32_e32 v7, 0x7fffffff, v2
	s_mov_b32 s8, 0x43f00000
	v_cmp_gt_u32_e32 vcc, s8, v7
                                        ; implicit-def: $vgpr3
	s_and_saveexec_b64 s[8:9], vcc
	s_xor_b64 s[8:9], exec, s[8:9]
	s_cbranch_execz .LBB9_373
; %bb.368:
	s_mov_b32 s10, 0x3c7fffff
	v_cmp_lt_u32_e32 vcc, s10, v7
                                        ; implicit-def: $vgpr3
	s_and_saveexec_b64 s[10:11], vcc
	s_xor_b64 s[10:11], exec, s[10:11]
; %bb.369:
	v_bfe_u32 v3, v2, 20, 1
	s_mov_b32 s12, 0x407ffff
	v_add3_u32 v3, v2, v3, s12
	v_lshrrev_b32_e32 v7, 20, v3
	v_and_b32_e32 v3, 0xff00000, v3
	s_mov_b32 s12, 0x7f00000
	v_mov_b32_e32 v10, 0x7e
	v_cmp_ne_u32_e32 vcc, s12, v3
	v_cndmask_b32_e32 v3, v10, v7, vcc
; %bb.370:
	s_andn2_saveexec_b64 s[10:11], s[10:11]
; %bb.371:
	s_mov_b32 s12, 0x46800000
	v_add_f32_e64 v3, |v2|, s12
; %bb.372:
	s_or_b64 exec, exec, s[10:11]
                                        ; implicit-def: $vgpr7
.LBB9_373:
	s_andn2_saveexec_b64 s[8:9], s[8:9]
; %bb.374:
	s_mov_b32 s10, 0x7f800000
	v_mov_b32_e32 v3, 0x7e
	v_mov_b32_e32 v10, 0x7f
	v_cmp_lt_u32_e32 vcc, s10, v7
	v_cndmask_b32_e32 v3, v3, v10, vcc
; %bb.375:
	s_or_b64 exec, exec, s[8:9]
	v_lshrrev_b32_e32 v2, 24, v2
	s_movk_i32 s8, 0x80
	v_and_or_b32 v2, v2, s8, v3
	global_store_byte v[4:5], v2, off
.LBB9_376:
	s_mov_b64 s[8:9], 0
.LBB9_377:
	s_andn2_b64 vcc, exec, s[8:9]
	s_cbranch_vccnz .LBB9_387
; %bb.378:
	v_cvt_f32_f64_e32 v2, v[0:1]
	v_and_b32_e32 v7, 0x7fffffff, v2
	s_mov_b32 s8, 0x47800000
	v_cmp_gt_u32_e32 vcc, s8, v7
                                        ; implicit-def: $vgpr3
	s_and_saveexec_b64 s[8:9], vcc
	s_xor_b64 s[8:9], exec, s[8:9]
	s_cbranch_execz .LBB9_384
; %bb.379:
	s_mov_b32 s10, 0x387fffff
	v_cmp_lt_u32_e32 vcc, s10, v7
                                        ; implicit-def: $vgpr3
	s_and_saveexec_b64 s[10:11], vcc
	s_xor_b64 s[10:11], exec, s[10:11]
; %bb.380:
	v_bfe_u32 v3, v2, 21, 1
	s_mov_b32 s12, 0x80fffff
	v_add3_u32 v3, v2, v3, s12
	v_lshrrev_b32_e32 v3, 21, v3
; %bb.381:
	s_andn2_saveexec_b64 s[10:11], s[10:11]
; %bb.382:
	s_mov_b32 s12, 0x43000000
	v_add_f32_e64 v3, |v2|, s12
; %bb.383:
	s_or_b64 exec, exec, s[10:11]
                                        ; implicit-def: $vgpr7
.LBB9_384:
	s_andn2_saveexec_b64 s[8:9], s[8:9]
; %bb.385:
	s_mov_b32 s10, 0x7f800000
	v_mov_b32_e32 v3, 0x7c
	v_mov_b32_e32 v10, 0x7f
	v_cmp_lt_u32_e32 vcc, s10, v7
	v_cndmask_b32_e32 v3, v3, v10, vcc
; %bb.386:
	s_or_b64 exec, exec, s[8:9]
	v_lshrrev_b32_e32 v2, 24, v2
	s_movk_i32 s8, 0x80
	v_and_or_b32 v2, v2, s8, v3
	global_store_byte v[4:5], v2, off
.LBB9_387:
	s_mov_b64 s[10:11], 0
	s_mov_b64 s[8:9], -1
.LBB9_388:
	s_andn2_b64 vcc, exec, s[10:11]
	s_cbranch_vccnz .LBB9_396
; %bb.389:
	v_mov_b32_e32 v2, 14
	v_cmp_gt_i16_sdwa s[12:13], v8, v2 src0_sel:BYTE_0 src1_sel:DWORD
	s_mov_b64 s[10:11], -1
	s_and_b64 vcc, exec, s[12:13]
	s_cbranch_vccz .LBB9_393
; %bb.390:
	v_mov_b32_e32 v2, 15
	v_cmp_eq_u16_sdwa s[10:11], v8, v2 src0_sel:BYTE_0 src1_sel:DWORD
	s_mov_b64 s[0:1], -1
	s_and_b64 vcc, exec, s[10:11]
	s_cbranch_vccz .LBB9_392
; %bb.391:
	v_cvt_f32_f64_e32 v2, v[0:1]
	v_bfe_u32 v3, v2, 16, 1
	s_movk_i32 s0, 0x7fff
	v_add3_u32 v3, v2, v3, s0
	v_lshrrev_b32_e32 v3, 16, v3
	v_mov_b32_e32 v7, 0x7fc0
	v_cmp_o_f32_e32 vcc, v2, v2
	v_cndmask_b32_e32 v2, v7, v3, vcc
	global_store_short v[4:5], v2, off
	s_mov_b64 s[8:9], -1
	s_mov_b64 s[0:1], 0
.LBB9_392:
	s_mov_b64 s[10:11], 0
.LBB9_393:
	s_and_b64 vcc, exec, s[10:11]
	s_cbranch_vccz .LBB9_396
; %bb.394:
	v_mov_b32_e32 v2, 11
	v_cmp_eq_u16_sdwa s[10:11], v8, v2 src0_sel:BYTE_0 src1_sel:DWORD
	s_mov_b64 s[0:1], -1
	s_and_b64 vcc, exec, s[10:11]
	s_cbranch_vccz .LBB9_396
; %bb.395:
	v_cmp_neq_f64_e32 vcc, 0, v[0:1]
	s_mov_b64 s[0:1], 0
	v_cndmask_b32_e64 v2, 0, 1, vcc
	s_mov_b64 s[8:9], -1
	global_store_byte v[4:5], v2, off
.LBB9_396:
	s_mov_b64 s[10:11], 0
.LBB9_397:
	s_and_b64 vcc, exec, s[10:11]
	s_cbranch_vccz .LBB9_436
; %bb.398:
	v_mov_b32_e32 v2, 5
	v_cmp_lt_i16_sdwa s[10:11], v8, v2 src0_sel:BYTE_0 src1_sel:DWORD
	s_mov_b64 s[8:9], -1
	s_and_b64 vcc, exec, s[10:11]
	s_cbranch_vccnz .LBB9_419
; %bb.399:
	v_mov_b32_e32 v2, 8
	v_cmp_lt_i16_sdwa s[10:11], v8, v2 src0_sel:BYTE_0 src1_sel:DWORD
	s_and_b64 vcc, exec, s[10:11]
	s_cbranch_vccnz .LBB9_409
; %bb.400:
	v_mov_b32_e32 v2, 9
	v_cmp_lt_i16_sdwa s[10:11], v8, v2 src0_sel:BYTE_0 src1_sel:DWORD
	s_and_b64 vcc, exec, s[10:11]
	s_cbranch_vccnz .LBB9_406
; %bb.401:
	v_cmp_gt_i16_sdwa s[10:11], v8, v2 src0_sel:BYTE_0 src1_sel:DWORD
	s_and_b64 vcc, exec, s[10:11]
	s_cbranch_vccz .LBB9_403
; %bb.402:
	v_mov_b32_e32 v2, 0
	v_mov_b32_e32 v3, v2
	s_mov_b64 s[8:9], 0
	global_store_dwordx4 v[4:5], v[0:3], off
.LBB9_403:
	s_andn2_b64 vcc, exec, s[8:9]
	s_cbranch_vccnz .LBB9_405
; %bb.404:
	v_cvt_f32_f64_e32 v2, v[0:1]
	v_mov_b32_e32 v3, 0
	global_store_dwordx2 v[4:5], v[2:3], off
.LBB9_405:
	s_mov_b64 s[8:9], 0
.LBB9_406:
	s_andn2_b64 vcc, exec, s[8:9]
	s_cbranch_vccnz .LBB9_408
; %bb.407:
	v_cvt_f32_f64_e32 v2, v[0:1]
	v_cvt_f16_f32_e32 v2, v2
	global_store_dword v[4:5], v2, off
.LBB9_408:
	s_mov_b64 s[8:9], 0
.LBB9_409:
	s_andn2_b64 vcc, exec, s[8:9]
	s_cbranch_vccnz .LBB9_418
; %bb.410:
	v_mov_b32_e32 v2, 6
	v_cmp_lt_i16_sdwa s[10:11], v8, v2 src0_sel:BYTE_0 src1_sel:DWORD
	s_mov_b64 s[8:9], -1
	s_and_b64 vcc, exec, s[10:11]
	s_cbranch_vccnz .LBB9_416
; %bb.411:
	v_cmp_gt_i16_sdwa s[10:11], v8, v2 src0_sel:BYTE_0 src1_sel:DWORD
	s_and_b64 vcc, exec, s[10:11]
	s_cbranch_vccz .LBB9_413
; %bb.412:
	s_mov_b64 s[8:9], 0
	global_store_dwordx2 v[4:5], v[0:1], off
.LBB9_413:
	s_andn2_b64 vcc, exec, s[8:9]
	s_cbranch_vccnz .LBB9_415
; %bb.414:
	v_cvt_f32_f64_e32 v2, v[0:1]
	global_store_dword v[4:5], v2, off
.LBB9_415:
	s_mov_b64 s[8:9], 0
.LBB9_416:
	s_andn2_b64 vcc, exec, s[8:9]
	s_cbranch_vccnz .LBB9_418
; %bb.417:
	v_cvt_f32_f64_e32 v2, v[0:1]
	v_cvt_f16_f32_e32 v2, v2
	global_store_short v[4:5], v2, off
.LBB9_418:
	s_mov_b64 s[8:9], 0
.LBB9_419:
	s_andn2_b64 vcc, exec, s[8:9]
	s_cbranch_vccnz .LBB9_435
; %bb.420:
	v_mov_b32_e32 v2, 2
	v_cmp_lt_i16_sdwa s[10:11], v8, v2 src0_sel:BYTE_0 src1_sel:DWORD
	s_mov_b64 s[8:9], -1
	s_and_b64 vcc, exec, s[10:11]
	s_cbranch_vccnz .LBB9_430
; %bb.421:
	v_mov_b32_e32 v2, 3
	v_cmp_lt_i16_sdwa s[10:11], v8, v2 src0_sel:BYTE_0 src1_sel:DWORD
	s_and_b64 vcc, exec, s[10:11]
	s_cbranch_vccnz .LBB9_427
; %bb.422:
	v_cmp_gt_i16_sdwa s[10:11], v8, v2 src0_sel:BYTE_0 src1_sel:DWORD
	s_and_b64 vcc, exec, s[10:11]
	s_cbranch_vccz .LBB9_424
; %bb.423:
	v_trunc_f64_e32 v[2:3], v[0:1]
	s_movk_i32 s8, 0xffe0
	v_ldexp_f64 v[10:11], v[2:3], s8
	v_floor_f64_e32 v[10:11], v[10:11]
	v_fmac_f64_e32 v[2:3], 0xc1f00000, v[10:11]
	v_cvt_i32_f64_e32 v13, v[10:11]
	v_cvt_u32_f64_e32 v12, v[2:3]
	s_mov_b64 s[8:9], 0
	global_store_dwordx2 v[4:5], v[12:13], off
.LBB9_424:
	s_andn2_b64 vcc, exec, s[8:9]
	s_cbranch_vccnz .LBB9_426
; %bb.425:
	v_cvt_i32_f64_e32 v2, v[0:1]
	global_store_dword v[4:5], v2, off
.LBB9_426:
	s_mov_b64 s[8:9], 0
.LBB9_427:
	s_andn2_b64 vcc, exec, s[8:9]
	s_cbranch_vccnz .LBB9_429
; %bb.428:
	v_cvt_i32_f64_e32 v2, v[0:1]
	global_store_short v[4:5], v2, off
.LBB9_429:
	s_mov_b64 s[8:9], 0
.LBB9_430:
	s_andn2_b64 vcc, exec, s[8:9]
	s_cbranch_vccnz .LBB9_435
; %bb.431:
	v_mov_b32_e32 v2, 0
	v_cmp_gt_i16_sdwa s[10:11], v8, v2 src0_sel:BYTE_0 src1_sel:DWORD
	s_mov_b64 s[8:9], -1
	s_and_b64 vcc, exec, s[10:11]
	s_cbranch_vccz .LBB9_433
; %bb.432:
	v_cvt_i32_f64_e32 v2, v[0:1]
	s_mov_b64 s[8:9], 0
	global_store_byte v[4:5], v2, off
.LBB9_433:
	s_andn2_b64 vcc, exec, s[8:9]
	s_cbranch_vccnz .LBB9_435
; %bb.434:
	v_trunc_f64_e32 v[0:1], v[0:1]
	s_movk_i32 s8, 0xffe0
	v_ldexp_f64 v[2:3], v[0:1], s8
	v_floor_f64_e32 v[2:3], v[2:3]
	v_fmac_f64_e32 v[0:1], 0xc1f00000, v[2:3]
	v_cvt_u32_f64_e32 v0, v[0:1]
	global_store_byte v[4:5], v0, off
.LBB9_435:
	s_mov_b64 s[8:9], -1
.LBB9_436:
	s_andn2_b64 vcc, exec, s[8:9]
	s_cbranch_vccnz .LBB9_438
; %bb.437:
	v_add_u32_e32 v9, 0x80, v9
	s_mov_b64 s[8:9], -1
	s_branch .LBB9_551
.LBB9_438:
	s_mov_b64 s[8:9], 0
	s_branch .LBB9_550
.LBB9_439:
	s_mov_b64 s[2:3], -1
                                        ; implicit-def: $vgpr4_vgpr5
.LBB9_440:
	s_mov_b64 s[8:9], 0
.LBB9_441:
	s_and_b64 vcc, exec, s[8:9]
	s_cbranch_vccz .LBB9_445
; %bb.442:
	v_cmp_eq_u16_e32 vcc, 29, v6
	s_cbranch_vccz .LBB9_444
; %bb.443:
	global_load_dwordx2 v[4:5], v[0:1], off
	s_mov_b64 s[0:1], -1
	s_mov_b64 s[2:3], 0
	s_mov_b64 s[8:9], 0
	s_waitcnt vmcnt(0)
	v_cvt_f64_u32_e32 v[10:11], v5
	v_cvt_f64_u32_e32 v[4:5], v4
	v_ldexp_f64 v[10:11], v[10:11], 32
	v_add_f64 v[4:5], v[10:11], v[4:5]
	s_branch .LBB9_446
.LBB9_444:
	s_mov_b64 s[2:3], -1
                                        ; implicit-def: $vgpr4_vgpr5
.LBB9_445:
	s_mov_b64 s[8:9], 0
.LBB9_446:
	s_and_b64 vcc, exec, s[8:9]
	s_cbranch_vccz .LBB9_464
; %bb.447:
	v_cmp_gt_i16_e32 vcc, 27, v6
	s_cbranch_vccnz .LBB9_450
; %bb.448:
	v_cmp_lt_i16_e32 vcc, 27, v6
	s_cbranch_vccz .LBB9_451
; %bb.449:
	global_load_dword v3, v[0:1], off
	s_mov_b64 s[0:1], 0
	s_waitcnt vmcnt(0)
	v_cvt_f64_u32_e32 v[4:5], v3
	s_branch .LBB9_452
.LBB9_450:
	s_mov_b64 s[0:1], -1
                                        ; implicit-def: $vgpr4_vgpr5
	s_branch .LBB9_455
.LBB9_451:
	s_mov_b64 s[0:1], -1
                                        ; implicit-def: $vgpr4_vgpr5
.LBB9_452:
	s_andn2_b64 vcc, exec, s[0:1]
	s_cbranch_vccnz .LBB9_454
; %bb.453:
	global_load_ushort v3, v[0:1], off
	s_waitcnt vmcnt(0)
	v_cvt_f64_u32_e32 v[4:5], v3
.LBB9_454:
	s_mov_b64 s[0:1], 0
.LBB9_455:
	s_andn2_b64 vcc, exec, s[0:1]
	s_cbranch_vccnz .LBB9_463
; %bb.456:
	global_load_ubyte v3, v[0:1], off
	s_movk_i32 s0, 0x7f
                                        ; implicit-def: $sgpr8_sgpr9
	s_waitcnt vmcnt(0)
	v_cmp_lt_i16_e32 vcc, s0, v3
	s_mov_b64 s[0:1], 0
	s_and_saveexec_b64 s[10:11], vcc
	s_xor_b64 s[10:11], exec, s[10:11]
	s_cbranch_execz .LBB9_477
; %bb.457:
	s_movk_i32 s0, 0x80
	v_cmp_eq_u16_e32 vcc, s0, v3
	s_mov_b64 s[12:13], -1
                                        ; implicit-def: $sgpr8_sgpr9
	s_and_saveexec_b64 s[0:1], vcc
; %bb.458:
	s_mov_b32 s9, 0x7ff80000
	s_brev_b32 s8, 4
	s_xor_b64 s[12:13], exec, -1
; %bb.459:
	s_or_b64 exec, exec, s[0:1]
	s_and_b64 s[0:1], s[12:13], exec
	s_or_saveexec_b64 s[10:11], s[10:11]
	v_pk_mov_b32 v[4:5], s[8:9], s[8:9] op_sel:[0,1]
	s_xor_b64 exec, exec, s[10:11]
	s_cbranch_execnz .LBB9_478
.LBB9_460:
	s_or_b64 exec, exec, s[10:11]
	s_and_saveexec_b64 s[8:9], s[0:1]
	s_cbranch_execz .LBB9_462
.LBB9_461:
	v_lshlrev_b32_e32 v4, 24, v3
	v_and_b32_e32 v3, 0xffff, v3
	v_and_b32_e32 v5, 7, v3
	v_ffbh_u32_e32 v10, v5
	v_min_u32_e32 v10, 32, v10
	v_subrev_u32_e32 v11, 28, v10
	v_bfe_u32 v7, v3, 3, 4
	v_lshlrev_b32_e32 v3, v11, v3
	v_sub_u32_e32 v10, 29, v10
	v_and_b32_e32 v3, 7, v3
	v_cmp_eq_u32_e32 vcc, 0, v7
	v_cndmask_b32_e32 v7, v7, v10, vcc
	v_cndmask_b32_e32 v3, v5, v3, vcc
	v_mov_b32_e32 v5, 0x3b800000
	v_lshlrev_b32_e32 v3, 20, v3
	v_and_b32_e32 v4, 0x80000000, v4
	v_lshl_add_u32 v5, v7, 23, v5
	v_or3_b32 v3, v4, v5, v3
	v_cvt_f64_f32_e32 v[4:5], v3
.LBB9_462:
	s_or_b64 exec, exec, s[8:9]
.LBB9_463:
	s_mov_b64 s[0:1], -1
.LBB9_464:
	s_mov_b64 s[8:9], 0
.LBB9_465:
	s_and_b64 vcc, exec, s[8:9]
	s_cbranch_vccz .LBB9_500
; %bb.466:
	v_cmp_lt_i16_e32 vcc, 22, v6
	s_cbranch_vccz .LBB9_476
; %bb.467:
	v_cmp_gt_i16_e32 vcc, 24, v6
	s_cbranch_vccnz .LBB9_479
; %bb.468:
	v_cmp_lt_i16_e32 vcc, 24, v6
	s_cbranch_vccz .LBB9_480
; %bb.469:
	global_load_ubyte v3, v[0:1], off
	s_movk_i32 s0, 0x7f
                                        ; implicit-def: $sgpr8_sgpr9
	s_waitcnt vmcnt(0)
	v_cmp_lt_i16_e32 vcc, s0, v3
	s_mov_b64 s[0:1], 0
	s_and_saveexec_b64 s[10:11], vcc
	s_xor_b64 s[10:11], exec, s[10:11]
	s_cbranch_execz .LBB9_492
; %bb.470:
	s_movk_i32 s0, 0x80
	v_cmp_eq_u16_e32 vcc, s0, v3
	s_mov_b64 s[12:13], -1
                                        ; implicit-def: $sgpr8_sgpr9
	s_and_saveexec_b64 s[0:1], vcc
; %bb.471:
	s_mov_b32 s9, 0x7ff80000
	s_brev_b32 s8, 4
	s_xor_b64 s[12:13], exec, -1
; %bb.472:
	s_or_b64 exec, exec, s[0:1]
	s_and_b64 s[0:1], s[12:13], exec
	s_or_saveexec_b64 s[10:11], s[10:11]
	v_pk_mov_b32 v[4:5], s[8:9], s[8:9] op_sel:[0,1]
	s_xor_b64 exec, exec, s[10:11]
	s_cbranch_execnz .LBB9_493
.LBB9_473:
	s_or_b64 exec, exec, s[10:11]
	s_and_saveexec_b64 s[8:9], s[0:1]
	s_cbranch_execz .LBB9_475
.LBB9_474:
	v_lshlrev_b32_e32 v4, 24, v3
	v_and_b32_e32 v3, 0xffff, v3
	v_and_b32_e32 v5, 3, v3
	v_ffbh_u32_e32 v10, v5
	v_min_u32_e32 v10, 32, v10
	v_subrev_u32_e32 v11, 29, v10
	v_bfe_u32 v7, v3, 2, 5
	v_lshlrev_b32_e32 v3, v11, v3
	v_sub_u32_e32 v10, 30, v10
	v_and_b32_e32 v3, 3, v3
	v_cmp_eq_u32_e32 vcc, 0, v7
	v_cndmask_b32_e32 v7, v7, v10, vcc
	v_cndmask_b32_e32 v3, v5, v3, vcc
	v_mov_b32_e32 v5, 0x37800000
	v_lshlrev_b32_e32 v3, 21, v3
	v_and_b32_e32 v4, 0x80000000, v4
	v_lshl_add_u32 v5, v7, 23, v5
	v_or3_b32 v3, v4, v5, v3
	v_cvt_f64_f32_e32 v[4:5], v3
.LBB9_475:
	s_or_b64 exec, exec, s[8:9]
	s_mov_b64 s[0:1], 0
	s_branch .LBB9_481
.LBB9_476:
	s_mov_b64 s[8:9], -1
                                        ; implicit-def: $vgpr4_vgpr5
	s_branch .LBB9_487
.LBB9_477:
	s_or_saveexec_b64 s[10:11], s[10:11]
	v_pk_mov_b32 v[4:5], s[8:9], s[8:9] op_sel:[0,1]
	s_xor_b64 exec, exec, s[10:11]
	s_cbranch_execz .LBB9_460
.LBB9_478:
	v_cmp_ne_u16_e32 vcc, 0, v3
	s_andn2_b64 s[0:1], s[0:1], exec
	s_and_b64 s[8:9], vcc, exec
	v_pk_mov_b32 v[4:5], 0, 0
	s_or_b64 s[0:1], s[0:1], s[8:9]
	s_or_b64 exec, exec, s[10:11]
	s_and_saveexec_b64 s[8:9], s[0:1]
	s_cbranch_execnz .LBB9_461
	s_branch .LBB9_462
.LBB9_479:
	s_mov_b64 s[0:1], -1
                                        ; implicit-def: $vgpr4_vgpr5
	s_branch .LBB9_484
.LBB9_480:
	s_mov_b64 s[0:1], -1
                                        ; implicit-def: $vgpr4_vgpr5
.LBB9_481:
	s_and_b64 vcc, exec, s[0:1]
	s_cbranch_vccz .LBB9_483
; %bb.482:
	global_load_ubyte v3, v[0:1], off
	s_mov_b32 s0, 0x7f800000
	s_waitcnt vmcnt(0)
	v_lshlrev_b32_e32 v3, 24, v3
	v_and_b32_e32 v4, 0x7f000000, v3
	v_ffbh_u32_e32 v5, v4
	v_min_u32_e32 v5, 32, v5
	v_sub_u32_e64 v5, v5, 4 clamp
	v_lshlrev_b32_e32 v10, v5, v4
	v_lshlrev_b32_e32 v5, 23, v5
	v_lshrrev_b32_e32 v10, 4, v10
	v_add_u32_e32 v7, 0x1000000, v4
	v_sub_u32_e32 v5, v10, v5
	v_ashrrev_i32_e32 v7, 8, v7
	v_add_u32_e32 v5, 0x3c000000, v5
	v_and_or_b32 v5, v7, s0, v5
	v_cmp_ne_u32_e32 vcc, 0, v4
	v_cndmask_b32_e32 v4, 0, v5, vcc
	s_brev_b32 s0, 1
	v_and_or_b32 v3, v3, s0, v4
	v_cvt_f64_f32_e32 v[4:5], v3
.LBB9_483:
	s_mov_b64 s[0:1], 0
.LBB9_484:
	s_andn2_b64 vcc, exec, s[0:1]
	s_cbranch_vccnz .LBB9_486
; %bb.485:
	global_load_ubyte v3, v[0:1], off
	s_movk_i32 s0, 0x7f00
	s_brev_b32 s1, 16
	s_waitcnt vmcnt(0)
	v_lshlrev_b16_e32 v4, 8, v3
	v_lshlrev_b32_e32 v3, 25, v3
	v_lshrrev_b32_e32 v5, 4, v3
	v_and_or_b32 v7, v4, s0, 0.5
	v_or_b32_e32 v5, 0x70000000, v5
	v_add_f32_e32 v7, -0.5, v7
	v_mul_f32_e32 v5, 0x7800000, v5
	v_cmp_gt_u32_e32 vcc, s1, v3
	v_bfe_i32 v4, v4, 0, 16
	v_cndmask_b32_e32 v3, v5, v7, vcc
	s_brev_b32 s0, 1
	v_and_or_b32 v3, v4, s0, v3
	v_cvt_f64_f32_e32 v[4:5], v3
.LBB9_486:
	s_mov_b64 s[8:9], 0
	s_mov_b64 s[0:1], -1
.LBB9_487:
	s_andn2_b64 vcc, exec, s[8:9]
	s_cbranch_vccnz .LBB9_500
; %bb.488:
	v_cmp_lt_i16_e32 vcc, 14, v6
	s_cbranch_vccz .LBB9_491
; %bb.489:
	v_cmp_eq_u16_e32 vcc, 15, v6
	s_cbranch_vccz .LBB9_494
; %bb.490:
	global_load_ushort v3, v[0:1], off
	s_mov_b64 s[0:1], -1
	s_mov_b64 s[2:3], 0
	s_waitcnt vmcnt(0)
	v_lshlrev_b32_e32 v3, 16, v3
	v_cvt_f64_f32_e32 v[4:5], v3
	s_branch .LBB9_495
.LBB9_491:
	s_mov_b64 s[8:9], -1
                                        ; implicit-def: $vgpr4_vgpr5
	s_branch .LBB9_496
.LBB9_492:
	s_or_saveexec_b64 s[10:11], s[10:11]
	v_pk_mov_b32 v[4:5], s[8:9], s[8:9] op_sel:[0,1]
	s_xor_b64 exec, exec, s[10:11]
	s_cbranch_execz .LBB9_473
.LBB9_493:
	v_cmp_ne_u16_e32 vcc, 0, v3
	s_andn2_b64 s[0:1], s[0:1], exec
	s_and_b64 s[8:9], vcc, exec
	v_pk_mov_b32 v[4:5], 0, 0
	s_or_b64 s[0:1], s[0:1], s[8:9]
	s_or_b64 exec, exec, s[10:11]
	s_and_saveexec_b64 s[8:9], s[0:1]
	s_cbranch_execnz .LBB9_474
	s_branch .LBB9_475
.LBB9_494:
	s_mov_b64 s[2:3], -1
                                        ; implicit-def: $vgpr4_vgpr5
.LBB9_495:
	s_mov_b64 s[8:9], 0
.LBB9_496:
	s_and_b64 vcc, exec, s[8:9]
	s_cbranch_vccz .LBB9_500
; %bb.497:
	v_cmp_eq_u16_e32 vcc, 11, v6
	s_cbranch_vccz .LBB9_499
; %bb.498:
	global_load_ubyte v3, v[0:1], off
	s_waitcnt vmcnt(1)
	v_mov_b32_e32 v5, 0x3ff00000
	v_mov_b32_e32 v4, 0
	s_mov_b64 s[0:1], -1
	s_mov_b64 s[2:3], 0
	s_waitcnt vmcnt(0)
	v_cmp_ne_u16_e32 vcc, 0, v3
	v_cndmask_b32_e32 v5, 0, v5, vcc
	s_branch .LBB9_500
.LBB9_499:
	s_mov_b64 s[2:3], -1
                                        ; implicit-def: $vgpr4_vgpr5
.LBB9_500:
	s_branch .LBB9_299
.LBB9_501:
	v_cmp_gt_i16_e32 vcc, 5, v6
	s_cbranch_vccnz .LBB9_506
; %bb.502:
	v_cmp_gt_i16_e32 vcc, 8, v6
	s_cbranch_vccnz .LBB9_507
; %bb.503:
	;; [unrolled: 3-line block ×3, first 2 shown]
	v_cmp_lt_i16_e32 vcc, 9, v6
	s_cbranch_vccz .LBB9_509
; %bb.505:
	global_load_dwordx2 v[4:5], v[0:1], off
	s_mov_b64 s[0:1], 0
	s_branch .LBB9_510
.LBB9_506:
	s_mov_b64 s[0:1], -1
                                        ; implicit-def: $vgpr4_vgpr5
	s_branch .LBB9_528
.LBB9_507:
	s_mov_b64 s[0:1], -1
                                        ; implicit-def: $vgpr4_vgpr5
	s_branch .LBB9_516
.LBB9_508:
	s_mov_b64 s[0:1], -1
                                        ; implicit-def: $vgpr4_vgpr5
	s_branch .LBB9_513
.LBB9_509:
	s_mov_b64 s[0:1], -1
                                        ; implicit-def: $vgpr4_vgpr5
.LBB9_510:
	s_andn2_b64 vcc, exec, s[0:1]
	s_cbranch_vccnz .LBB9_512
; %bb.511:
	global_load_dword v3, v[0:1], off
	s_waitcnt vmcnt(0)
	v_cvt_f64_f32_e32 v[4:5], v3
.LBB9_512:
	s_mov_b64 s[0:1], 0
.LBB9_513:
	s_andn2_b64 vcc, exec, s[0:1]
	s_cbranch_vccnz .LBB9_515
; %bb.514:
	global_load_dword v3, v[0:1], off
	s_waitcnt vmcnt(0)
	v_cvt_f32_f16_e32 v3, v3
	v_cvt_f64_f32_e32 v[4:5], v3
.LBB9_515:
	s_mov_b64 s[0:1], 0
.LBB9_516:
	s_andn2_b64 vcc, exec, s[0:1]
	s_cbranch_vccnz .LBB9_527
; %bb.517:
	v_cmp_gt_i16_e32 vcc, 6, v6
	s_cbranch_vccnz .LBB9_520
; %bb.518:
	v_cmp_lt_i16_e32 vcc, 6, v6
	s_cbranch_vccz .LBB9_521
; %bb.519:
	global_load_dwordx2 v[4:5], v[0:1], off
	s_mov_b64 s[0:1], 0
	s_branch .LBB9_522
.LBB9_520:
	s_mov_b64 s[0:1], -1
                                        ; implicit-def: $vgpr4_vgpr5
	s_branch .LBB9_525
.LBB9_521:
	s_mov_b64 s[0:1], -1
                                        ; implicit-def: $vgpr4_vgpr5
.LBB9_522:
	s_andn2_b64 vcc, exec, s[0:1]
	s_cbranch_vccnz .LBB9_524
; %bb.523:
	global_load_dword v3, v[0:1], off
	s_waitcnt vmcnt(0)
	v_cvt_f64_f32_e32 v[4:5], v3
.LBB9_524:
	s_mov_b64 s[0:1], 0
.LBB9_525:
	s_andn2_b64 vcc, exec, s[0:1]
	s_cbranch_vccnz .LBB9_527
; %bb.526:
	global_load_ushort v3, v[0:1], off
	s_waitcnt vmcnt(0)
	v_cvt_f32_f16_e32 v3, v3
	v_cvt_f64_f32_e32 v[4:5], v3
.LBB9_527:
	s_mov_b64 s[0:1], 0
.LBB9_528:
	s_andn2_b64 vcc, exec, s[0:1]
	s_cbranch_vccnz .LBB9_548
; %bb.529:
	v_cmp_gt_i16_e32 vcc, 2, v6
	s_cbranch_vccnz .LBB9_533
; %bb.530:
	v_cmp_gt_i16_e32 vcc, 3, v6
	s_cbranch_vccnz .LBB9_534
; %bb.531:
	v_cmp_lt_i16_e32 vcc, 3, v6
	s_cbranch_vccz .LBB9_535
; %bb.532:
	global_load_dwordx2 v[4:5], v[0:1], off
	s_mov_b64 s[0:1], 0
	s_waitcnt vmcnt(0)
	v_cvt_f64_i32_e32 v[10:11], v5
	v_cvt_f64_u32_e32 v[4:5], v4
	v_ldexp_f64 v[10:11], v[10:11], 32
	v_add_f64 v[4:5], v[10:11], v[4:5]
	s_branch .LBB9_536
.LBB9_533:
	s_mov_b64 s[0:1], -1
                                        ; implicit-def: $vgpr4_vgpr5
	s_branch .LBB9_542
.LBB9_534:
	s_mov_b64 s[0:1], -1
                                        ; implicit-def: $vgpr4_vgpr5
	s_branch .LBB9_539
.LBB9_535:
	s_mov_b64 s[0:1], -1
                                        ; implicit-def: $vgpr4_vgpr5
.LBB9_536:
	s_andn2_b64 vcc, exec, s[0:1]
	s_cbranch_vccnz .LBB9_538
; %bb.537:
	global_load_dword v3, v[0:1], off
	s_waitcnt vmcnt(0)
	v_cvt_f64_i32_e32 v[4:5], v3
.LBB9_538:
	s_mov_b64 s[0:1], 0
.LBB9_539:
	s_andn2_b64 vcc, exec, s[0:1]
	s_cbranch_vccnz .LBB9_541
; %bb.540:
	global_load_sshort v3, v[0:1], off
	s_waitcnt vmcnt(0)
	v_cvt_f64_i32_e32 v[4:5], v3
.LBB9_541:
	s_mov_b64 s[0:1], 0
.LBB9_542:
	s_andn2_b64 vcc, exec, s[0:1]
	s_cbranch_vccnz .LBB9_548
; %bb.543:
	v_cmp_lt_i16_e32 vcc, 0, v6
	s_cbranch_vccz .LBB9_545
; %bb.544:
	global_load_sbyte v3, v[0:1], off
	s_mov_b64 s[0:1], 0
	s_waitcnt vmcnt(0)
	v_cvt_f64_i32_e32 v[4:5], v3
	s_branch .LBB9_546
.LBB9_545:
	s_mov_b64 s[0:1], -1
                                        ; implicit-def: $vgpr4_vgpr5
.LBB9_546:
	s_andn2_b64 vcc, exec, s[0:1]
	s_cbranch_vccnz .LBB9_548
; %bb.547:
	global_load_ubyte v0, v[0:1], off
	s_waitcnt vmcnt(0)
	v_cvt_f64_u32_e32 v[4:5], v0
.LBB9_548:
	s_branch .LBB9_300
.LBB9_549:
	s_mov_b64 s[8:9], 0
	s_mov_b64 s[0:1], s[52:53]
.LBB9_550:
                                        ; implicit-def: $vgpr9
.LBB9_551:
	s_andn2_b64 s[10:11], s[52:53], exec
	s_and_b64 s[0:1], s[0:1], exec
	s_or_b64 s[60:61], s[10:11], s[0:1]
	s_andn2_b64 s[0:1], s[54:55], exec
	s_and_b64 s[2:3], s[2:3], exec
	s_or_b64 s[58:59], s[0:1], s[2:3]
	s_orn2_b64 s[0:1], s[8:9], exec
.LBB9_552:
	s_or_b64 exec, exec, s[62:63]
	s_mov_b64 s[2:3], 0
	s_mov_b64 s[8:9], 0
	;; [unrolled: 1-line block ×3, first 2 shown]
                                        ; implicit-def: $vgpr0_vgpr1
                                        ; implicit-def: $vgpr2
                                        ; implicit-def: $vgpr4_vgpr5
	s_and_saveexec_b64 s[62:63], s[0:1]
	s_cbranch_execz .LBB9_933
; %bb.553:
	v_cmp_gt_i32_e32 vcc, s72, v9
	s_mov_b64 s[2:3], -1
	s_mov_b64 s[66:67], s[58:59]
	s_mov_b64 s[68:69], s[60:61]
	s_and_saveexec_b64 s[64:65], vcc
	s_cbranch_execz .LBB9_832
; %bb.554:
	s_andn2_b64 vcc, exec, s[40:41]
	s_cbranch_vccnz .LBB9_560
; %bb.555:
	s_mov_b32 s66, 0
	s_andn2_b64 vcc, exec, s[50:51]
	v_mov_b32_e32 v0, 0
	v_mov_b32_e32 v2, 0
	s_cbranch_vccnz .LBB9_566
; %bb.556:
	s_add_i32 s75, s73, 1
	s_cmp_eq_u32 s74, 2
	s_cbranch_scc1 .LBB9_561
; %bb.557:
	s_and_b32 s66, s75, 28
	s_mov_b32 s67, 0
	v_mov_b32_e32 v2, 0
	s_mov_b64 s[68:69], s[34:35]
	s_mov_b64 s[70:71], s[48:49]
	v_mov_b32_e32 v1, v9
	v_mov_b32_e32 v0, 0
.LBB9_558:                              ; =>This Inner Loop Header: Depth=1
	s_load_dwordx8 s[16:23], s[68:69], 0x4
	s_load_dwordx4 s[0:3], s[68:69], 0x24
	s_load_dwordx8 s[8:15], s[70:71], 0x0
	s_add_u32 s68, s68, 48
	s_addc_u32 s69, s69, 0
	s_waitcnt lgkmcnt(0)
	v_mul_hi_u32 v3, s17, v1
	v_add_u32_e32 v3, v1, v3
	v_lshrrev_b32_e32 v3, s18, v3
	s_waitcnt vmcnt(0)
	v_mul_lo_u32 v4, v3, s16
	v_mul_hi_u32 v5, s20, v3
	v_sub_u32_e32 v1, v1, v4
	v_add_u32_e32 v4, v3, v5
	v_lshrrev_b32_e32 v4, s21, v4
	v_mul_lo_u32 v7, v4, s19
	v_mul_hi_u32 v10, s23, v4
	v_sub_u32_e32 v3, v3, v7
	v_add_u32_e32 v7, v4, v10
	v_mul_lo_u32 v5, v1, s9
	v_mul_lo_u32 v1, v1, s8
	;; [unrolled: 1-line block ×4, first 2 shown]
	v_lshrrev_b32_e32 v7, s0, v7
	v_add3_u32 v2, v1, v2, v3
	v_mul_lo_u32 v1, v7, s22
	v_mul_hi_u32 v3, s2, v7
	v_sub_u32_e32 v1, v4, v1
	v_add_u32_e32 v3, v7, v3
	v_add3_u32 v0, v5, v0, v10
	v_mul_lo_u32 v4, v1, s12
	v_mul_lo_u32 v5, v1, s13
	v_lshrrev_b32_e32 v1, s3, v3
	s_add_i32 s67, s67, 4
	v_mul_lo_u32 v3, v1, s1
	s_add_u32 s70, s70, 32
	v_sub_u32_e32 v3, v7, v3
	s_addc_u32 s71, s71, 0
	v_mul_lo_u32 v7, v3, s14
	v_mul_lo_u32 v3, v3, s15
	s_cmp_eq_u32 s66, s67
	v_add3_u32 v0, v5, v0, v3
	v_add3_u32 v2, v4, v2, v7
	s_cbranch_scc0 .LBB9_558
; %bb.559:
	v_mov_b32_e32 v3, v0
	s_branch .LBB9_562
.LBB9_560:
	s_mov_b64 s[0:1], -1
                                        ; implicit-def: $vgpr0
                                        ; implicit-def: $vgpr2
	s_branch .LBB9_567
.LBB9_561:
	s_mov_b32 s67, s66
	v_pk_mov_b32 v[2:3], s[66:67], s[66:67] op_sel:[0,1]
                                        ; implicit-def: $vgpr0
	v_mov_b32_e32 v1, v9
.LBB9_562:
	s_and_b32 s8, s75, 3
	s_cmp_eq_u32 s8, 0
	s_cbranch_scc1 .LBB9_566
; %bb.563:
	s_lshl_b32 s0, s66, 3
	s_add_u32 s0, s0, s34
	s_addc_u32 s1, s35, 0
	s_add_u32 s0, s0, 0xc4
	s_addc_u32 s1, s1, 0
	s_mul_i32 s2, s66, 12
	s_add_u32 s2, s34, s2
	s_addc_u32 s3, s35, 0
.LBB9_564:                              ; =>This Inner Loop Header: Depth=1
	s_load_dwordx2 s[10:11], s[2:3], 0x4
	s_load_dword s9, s[2:3], 0xc
	s_load_dwordx2 s[12:13], s[0:1], 0x0
	v_mov_b32_e32 v0, v3
	s_add_u32 s2, s2, 12
	s_waitcnt lgkmcnt(0)
	v_mul_hi_u32 v3, s11, v1
	v_add_u32_e32 v3, v1, v3
	v_lshrrev_b32_e32 v3, s9, v3
	s_addc_u32 s3, s3, 0
	s_waitcnt vmcnt(0)
	v_mul_lo_u32 v4, v3, s10
	s_add_u32 s0, s0, 8
	v_sub_u32_e32 v7, v1, v4
	v_mov_b32_e32 v1, v3
	s_addc_u32 s1, s1, 0
	s_add_i32 s8, s8, -1
	v_mad_u64_u32 v[4:5], s[10:11], v7, s13, v[0:1]
	v_mad_u64_u32 v[2:3], s[10:11], v7, s12, v[2:3]
	s_cmp_lg_u32 s8, 0
	v_mov_b32_e32 v3, v4
	s_cbranch_scc1 .LBB9_564
; %bb.565:
	v_mov_b32_e32 v0, v3
.LBB9_566:
	s_mov_b64 s[0:1], 0
.LBB9_567:
	s_andn2_b64 vcc, exec, s[0:1]
	s_cbranch_vccnz .LBB9_570
; %bb.568:
	s_waitcnt lgkmcnt(0)
	v_mul_hi_u32 v0, s37, v9
	v_add_u32_e32 v0, v9, v0
	v_lshrrev_b32_e32 v1, s38, v0
	v_mul_lo_u32 v0, v1, s36
	v_sub_u32_e32 v2, v9, v0
	v_mul_lo_u32 v0, v2, s29
	s_andn2_b64 vcc, exec, s[46:47]
	v_mul_lo_u32 v2, v2, s28
	s_cbranch_vccnz .LBB9_570
; %bb.569:
	v_mul_hi_u32 v3, s44, v1
	v_add_u32_e32 v3, v1, v3
	v_lshrrev_b32_e32 v3, s45, v3
	v_mul_lo_u32 v3, v3, s39
	v_sub_u32_e32 v1, v1, v3
	v_mad_u64_u32 v[2:3], s[0:1], v1, s30, v[2:3]
	v_mad_u64_u32 v[0:1], s[0:1], v1, s31, v[0:1]
.LBB9_570:
	s_waitcnt lgkmcnt(0)
	v_mov_b32_e32 v1, s27
	v_add_co_u32_e32 v0, vcc, s26, v0
	v_addc_co_u32_e32 v1, vcc, 0, v1, vcc
	v_cmp_gt_i16_e32 vcc, 11, v6
	s_cbranch_vccnz .LBB9_577
; %bb.571:
	v_cmp_lt_i16_e32 vcc, 25, v6
	s_cbranch_vccz .LBB9_578
; %bb.572:
	v_cmp_lt_i16_e32 vcc, 28, v6
	s_cbranch_vccz .LBB9_579
; %bb.573:
	v_cmp_lt_i16_e32 vcc, 43, v6
	s_cbranch_vccz .LBB9_580
; %bb.574:
	v_cmp_lt_i16_e32 vcc, 45, v6
	s_cbranch_vccz .LBB9_583
; %bb.575:
	v_cmp_eq_u16_e32 vcc, 46, v6
	s_mov_b64 s[8:9], 0
	s_cbranch_vccz .LBB9_586
; %bb.576:
	global_load_dword v3, v[0:1], off
	s_mov_b64 s[0:1], -1
	s_mov_b64 s[2:3], 0
	s_waitcnt vmcnt(0)
	v_lshlrev_b32_e32 v3, 16, v3
	v_cvt_f64_f32_e32 v[4:5], v3
	s_branch .LBB9_587
.LBB9_577:
	s_mov_b64 s[8:9], -1
	s_mov_b64 s[0:1], 0
                                        ; implicit-def: $vgpr4_vgpr5
	s_mov_b64 s[2:3], s[58:59]
	s_branch .LBB9_652
.LBB9_578:
	s_mov_b64 s[8:9], -1
	s_mov_b64 s[0:1], 0
	s_mov_b64 s[2:3], s[58:59]
                                        ; implicit-def: $vgpr4_vgpr5
	s_branch .LBB9_616
.LBB9_579:
	s_mov_b64 s[8:9], -1
	s_mov_b64 s[0:1], 0
	s_mov_b64 s[2:3], s[58:59]
                                        ; implicit-def: $vgpr4_vgpr5
	s_branch .LBB9_597
.LBB9_580:
	s_mov_b64 s[8:9], -1
	s_mov_b64 s[0:1], 0
	s_mov_b64 s[2:3], s[58:59]
                                        ; implicit-def: $vgpr4_vgpr5
	s_branch .LBB9_592
.LBB9_581:
	s_or_saveexec_b64 s[12:13], s[12:13]
                                        ; implicit-def: $sgpr14
	s_xor_b64 exec, exec, s[12:13]
	s_cbranch_execz .LBB9_349
.LBB9_582:
	s_mov_b32 s14, 0x46000000
	v_add_f32_e64 v3, |v2|, s14
	v_and_b32_e32 v3, 0xff, v3
	v_cmp_ne_u32_e32 vcc, 0, v3
	s_andn2_b64 s[10:11], s[10:11], exec
	s_and_b64 s[16:17], vcc, exec
	s_mov_b32 s14, 0
	s_or_b64 s[10:11], s[10:11], s[16:17]
	s_or_b64 exec, exec, s[12:13]
	v_mov_b32_e32 v7, s14
	s_and_saveexec_b64 s[12:13], s[10:11]
	s_cbranch_execnz .LBB9_350
	s_branch .LBB9_351
.LBB9_583:
	s_mov_b64 s[8:9], -1
	s_mov_b64 s[0:1], 0
	s_mov_b64 s[2:3], s[58:59]
                                        ; implicit-def: $vgpr4_vgpr5
	s_branch .LBB9_587
.LBB9_584:
	s_or_saveexec_b64 s[12:13], s[12:13]
                                        ; implicit-def: $sgpr14
	s_xor_b64 exec, exec, s[12:13]
	s_cbranch_execz .LBB9_362
.LBB9_585:
	s_mov_b32 s14, 0x42800000
	v_add_f32_e64 v3, |v2|, s14
	v_and_b32_e32 v3, 0xff, v3
	v_cmp_ne_u32_e32 vcc, 0, v3
	s_andn2_b64 s[10:11], s[10:11], exec
	s_and_b64 s[16:17], vcc, exec
	s_mov_b32 s14, 0
	s_or_b64 s[10:11], s[10:11], s[16:17]
	s_or_b64 exec, exec, s[12:13]
	v_mov_b32_e32 v7, s14
	s_and_saveexec_b64 s[12:13], s[10:11]
	s_cbranch_execnz .LBB9_363
	s_branch .LBB9_364
.LBB9_586:
	s_mov_b64 s[2:3], -1
                                        ; implicit-def: $vgpr4_vgpr5
	s_mov_b64 s[0:1], 0
.LBB9_587:
	s_and_b64 vcc, exec, s[8:9]
	s_cbranch_vccz .LBB9_591
; %bb.588:
	v_cmp_eq_u16_e32 vcc, 44, v6
	s_cbranch_vccz .LBB9_590
; %bb.589:
	global_load_ubyte v3, v[0:1], off
	s_movk_i32 s2, 0xff
	v_bfrev_b32_e32 v7, 4
	v_mov_b32_e32 v10, 0x7ff80000
	v_bfrev_b32_e32 v11, 28
	s_mov_b64 s[0:1], -1
	s_waitcnt vmcnt(0)
	v_lshlrev_b32_e32 v4, 23, v3
	v_cvt_f64_f32_e32 v[4:5], v4
	v_cmp_ne_u32_e32 vcc, s2, v3
	v_cndmask_b32_e32 v4, v7, v4, vcc
	v_cndmask_b32_e32 v5, v10, v5, vcc
	v_cmp_ne_u32_e32 vcc, 0, v3
	v_cndmask_b32_e32 v5, v11, v5, vcc
	v_cndmask_b32_e32 v4, 0, v4, vcc
	s_mov_b64 s[2:3], 0
	s_branch .LBB9_591
.LBB9_590:
	s_mov_b64 s[2:3], -1
                                        ; implicit-def: $vgpr4_vgpr5
.LBB9_591:
	s_mov_b64 s[8:9], 0
.LBB9_592:
	s_and_b64 vcc, exec, s[8:9]
	s_cbranch_vccz .LBB9_596
; %bb.593:
	v_cmp_eq_u16_e32 vcc, 29, v6
	s_cbranch_vccz .LBB9_595
; %bb.594:
	global_load_dwordx2 v[4:5], v[0:1], off
	s_mov_b64 s[0:1], -1
	s_mov_b64 s[2:3], 0
	s_mov_b64 s[8:9], 0
	s_waitcnt vmcnt(0)
	v_cvt_f64_u32_e32 v[10:11], v5
	v_cvt_f64_u32_e32 v[4:5], v4
	v_ldexp_f64 v[10:11], v[10:11], 32
	v_add_f64 v[4:5], v[10:11], v[4:5]
	s_branch .LBB9_597
.LBB9_595:
	s_mov_b64 s[2:3], -1
                                        ; implicit-def: $vgpr4_vgpr5
.LBB9_596:
	s_mov_b64 s[8:9], 0
.LBB9_597:
	s_and_b64 vcc, exec, s[8:9]
	s_cbranch_vccz .LBB9_615
; %bb.598:
	v_cmp_gt_i16_e32 vcc, 27, v6
	s_cbranch_vccnz .LBB9_601
; %bb.599:
	v_cmp_lt_i16_e32 vcc, 27, v6
	s_cbranch_vccz .LBB9_602
; %bb.600:
	global_load_dword v3, v[0:1], off
	s_mov_b64 s[0:1], 0
	s_waitcnt vmcnt(0)
	v_cvt_f64_u32_e32 v[4:5], v3
	s_branch .LBB9_603
.LBB9_601:
	s_mov_b64 s[0:1], -1
                                        ; implicit-def: $vgpr4_vgpr5
	s_branch .LBB9_606
.LBB9_602:
	s_mov_b64 s[0:1], -1
                                        ; implicit-def: $vgpr4_vgpr5
.LBB9_603:
	s_andn2_b64 vcc, exec, s[0:1]
	s_cbranch_vccnz .LBB9_605
; %bb.604:
	global_load_ushort v3, v[0:1], off
	s_waitcnt vmcnt(0)
	v_cvt_f64_u32_e32 v[4:5], v3
.LBB9_605:
	s_mov_b64 s[0:1], 0
.LBB9_606:
	s_andn2_b64 vcc, exec, s[0:1]
	s_cbranch_vccnz .LBB9_614
; %bb.607:
	global_load_ubyte v3, v[0:1], off
	s_movk_i32 s0, 0x7f
                                        ; implicit-def: $sgpr8_sgpr9
	s_waitcnt vmcnt(0)
	v_cmp_lt_i16_e32 vcc, s0, v3
	s_mov_b64 s[0:1], 0
	s_and_saveexec_b64 s[10:11], vcc
	s_xor_b64 s[10:11], exec, s[10:11]
	s_cbranch_execz .LBB9_628
; %bb.608:
	s_movk_i32 s0, 0x80
	v_cmp_eq_u16_e32 vcc, s0, v3
	s_mov_b64 s[12:13], -1
                                        ; implicit-def: $sgpr8_sgpr9
	s_and_saveexec_b64 s[0:1], vcc
; %bb.609:
	s_mov_b32 s9, 0x7ff80000
	s_brev_b32 s8, 4
	s_xor_b64 s[12:13], exec, -1
; %bb.610:
	s_or_b64 exec, exec, s[0:1]
	s_and_b64 s[0:1], s[12:13], exec
	s_or_saveexec_b64 s[10:11], s[10:11]
	v_pk_mov_b32 v[4:5], s[8:9], s[8:9] op_sel:[0,1]
	s_xor_b64 exec, exec, s[10:11]
	s_cbranch_execnz .LBB9_629
.LBB9_611:
	s_or_b64 exec, exec, s[10:11]
	s_and_saveexec_b64 s[8:9], s[0:1]
	s_cbranch_execz .LBB9_613
.LBB9_612:
	v_lshlrev_b32_e32 v4, 24, v3
	v_and_b32_e32 v3, 0xffff, v3
	v_and_b32_e32 v5, 7, v3
	v_ffbh_u32_e32 v10, v5
	v_min_u32_e32 v10, 32, v10
	v_subrev_u32_e32 v11, 28, v10
	v_bfe_u32 v7, v3, 3, 4
	v_lshlrev_b32_e32 v3, v11, v3
	v_sub_u32_e32 v10, 29, v10
	v_and_b32_e32 v3, 7, v3
	v_cmp_eq_u32_e32 vcc, 0, v7
	v_cndmask_b32_e32 v7, v7, v10, vcc
	v_cndmask_b32_e32 v3, v5, v3, vcc
	v_mov_b32_e32 v5, 0x3b800000
	v_lshlrev_b32_e32 v3, 20, v3
	v_and_b32_e32 v4, 0x80000000, v4
	v_lshl_add_u32 v5, v7, 23, v5
	v_or3_b32 v3, v4, v5, v3
	v_cvt_f64_f32_e32 v[4:5], v3
.LBB9_613:
	s_or_b64 exec, exec, s[8:9]
.LBB9_614:
	s_mov_b64 s[0:1], -1
.LBB9_615:
	s_mov_b64 s[8:9], 0
.LBB9_616:
	s_and_b64 vcc, exec, s[8:9]
	s_cbranch_vccz .LBB9_651
; %bb.617:
	v_cmp_lt_i16_e32 vcc, 22, v6
	s_cbranch_vccz .LBB9_627
; %bb.618:
	v_cmp_gt_i16_e32 vcc, 24, v6
	s_cbranch_vccnz .LBB9_630
; %bb.619:
	v_cmp_lt_i16_e32 vcc, 24, v6
	s_cbranch_vccz .LBB9_631
; %bb.620:
	global_load_ubyte v3, v[0:1], off
	s_movk_i32 s0, 0x7f
                                        ; implicit-def: $sgpr8_sgpr9
	s_waitcnt vmcnt(0)
	v_cmp_lt_i16_e32 vcc, s0, v3
	s_mov_b64 s[0:1], 0
	s_and_saveexec_b64 s[10:11], vcc
	s_xor_b64 s[10:11], exec, s[10:11]
	s_cbranch_execz .LBB9_643
; %bb.621:
	s_movk_i32 s0, 0x80
	v_cmp_eq_u16_e32 vcc, s0, v3
	s_mov_b64 s[12:13], -1
                                        ; implicit-def: $sgpr8_sgpr9
	s_and_saveexec_b64 s[0:1], vcc
; %bb.622:
	s_mov_b32 s9, 0x7ff80000
	s_brev_b32 s8, 4
	s_xor_b64 s[12:13], exec, -1
; %bb.623:
	s_or_b64 exec, exec, s[0:1]
	s_and_b64 s[0:1], s[12:13], exec
	s_or_saveexec_b64 s[10:11], s[10:11]
	v_pk_mov_b32 v[4:5], s[8:9], s[8:9] op_sel:[0,1]
	s_xor_b64 exec, exec, s[10:11]
	s_cbranch_execnz .LBB9_644
.LBB9_624:
	s_or_b64 exec, exec, s[10:11]
	s_and_saveexec_b64 s[8:9], s[0:1]
	s_cbranch_execz .LBB9_626
.LBB9_625:
	v_lshlrev_b32_e32 v4, 24, v3
	v_and_b32_e32 v3, 0xffff, v3
	v_and_b32_e32 v5, 3, v3
	v_ffbh_u32_e32 v10, v5
	v_min_u32_e32 v10, 32, v10
	v_subrev_u32_e32 v11, 29, v10
	v_bfe_u32 v7, v3, 2, 5
	v_lshlrev_b32_e32 v3, v11, v3
	v_sub_u32_e32 v10, 30, v10
	v_and_b32_e32 v3, 3, v3
	v_cmp_eq_u32_e32 vcc, 0, v7
	v_cndmask_b32_e32 v7, v7, v10, vcc
	v_cndmask_b32_e32 v3, v5, v3, vcc
	v_mov_b32_e32 v5, 0x37800000
	v_lshlrev_b32_e32 v3, 21, v3
	v_and_b32_e32 v4, 0x80000000, v4
	v_lshl_add_u32 v5, v7, 23, v5
	v_or3_b32 v3, v4, v5, v3
	v_cvt_f64_f32_e32 v[4:5], v3
.LBB9_626:
	s_or_b64 exec, exec, s[8:9]
	s_mov_b64 s[0:1], 0
	s_branch .LBB9_632
.LBB9_627:
	s_mov_b64 s[8:9], -1
                                        ; implicit-def: $vgpr4_vgpr5
	s_branch .LBB9_638
.LBB9_628:
	s_or_saveexec_b64 s[10:11], s[10:11]
	v_pk_mov_b32 v[4:5], s[8:9], s[8:9] op_sel:[0,1]
	s_xor_b64 exec, exec, s[10:11]
	s_cbranch_execz .LBB9_611
.LBB9_629:
	v_cmp_ne_u16_e32 vcc, 0, v3
	s_andn2_b64 s[0:1], s[0:1], exec
	s_and_b64 s[8:9], vcc, exec
	v_pk_mov_b32 v[4:5], 0, 0
	s_or_b64 s[0:1], s[0:1], s[8:9]
	s_or_b64 exec, exec, s[10:11]
	s_and_saveexec_b64 s[8:9], s[0:1]
	s_cbranch_execnz .LBB9_612
	s_branch .LBB9_613
.LBB9_630:
	s_mov_b64 s[0:1], -1
                                        ; implicit-def: $vgpr4_vgpr5
	s_branch .LBB9_635
.LBB9_631:
	s_mov_b64 s[0:1], -1
                                        ; implicit-def: $vgpr4_vgpr5
.LBB9_632:
	s_and_b64 vcc, exec, s[0:1]
	s_cbranch_vccz .LBB9_634
; %bb.633:
	global_load_ubyte v3, v[0:1], off
	s_mov_b32 s0, 0x7f800000
	s_waitcnt vmcnt(0)
	v_lshlrev_b32_e32 v3, 24, v3
	v_and_b32_e32 v4, 0x7f000000, v3
	v_ffbh_u32_e32 v5, v4
	v_min_u32_e32 v5, 32, v5
	v_sub_u32_e64 v5, v5, 4 clamp
	v_lshlrev_b32_e32 v10, v5, v4
	v_lshlrev_b32_e32 v5, 23, v5
	v_lshrrev_b32_e32 v10, 4, v10
	v_add_u32_e32 v7, 0x1000000, v4
	v_sub_u32_e32 v5, v10, v5
	v_ashrrev_i32_e32 v7, 8, v7
	v_add_u32_e32 v5, 0x3c000000, v5
	v_and_or_b32 v5, v7, s0, v5
	v_cmp_ne_u32_e32 vcc, 0, v4
	v_cndmask_b32_e32 v4, 0, v5, vcc
	s_brev_b32 s0, 1
	v_and_or_b32 v3, v3, s0, v4
	v_cvt_f64_f32_e32 v[4:5], v3
.LBB9_634:
	s_mov_b64 s[0:1], 0
.LBB9_635:
	s_andn2_b64 vcc, exec, s[0:1]
	s_cbranch_vccnz .LBB9_637
; %bb.636:
	global_load_ubyte v3, v[0:1], off
	s_movk_i32 s0, 0x7f00
	s_brev_b32 s1, 16
	s_waitcnt vmcnt(0)
	v_lshlrev_b16_e32 v4, 8, v3
	v_lshlrev_b32_e32 v3, 25, v3
	v_lshrrev_b32_e32 v5, 4, v3
	v_and_or_b32 v7, v4, s0, 0.5
	v_or_b32_e32 v5, 0x70000000, v5
	v_add_f32_e32 v7, -0.5, v7
	v_mul_f32_e32 v5, 0x7800000, v5
	v_cmp_gt_u32_e32 vcc, s1, v3
	v_bfe_i32 v4, v4, 0, 16
	v_cndmask_b32_e32 v3, v5, v7, vcc
	s_brev_b32 s0, 1
	v_and_or_b32 v3, v4, s0, v3
	v_cvt_f64_f32_e32 v[4:5], v3
.LBB9_637:
	s_mov_b64 s[8:9], 0
	s_mov_b64 s[0:1], -1
.LBB9_638:
	s_andn2_b64 vcc, exec, s[8:9]
	s_cbranch_vccnz .LBB9_651
; %bb.639:
	v_cmp_lt_i16_e32 vcc, 14, v6
	s_cbranch_vccz .LBB9_642
; %bb.640:
	v_cmp_eq_u16_e32 vcc, 15, v6
	s_cbranch_vccz .LBB9_645
; %bb.641:
	global_load_ushort v3, v[0:1], off
	s_mov_b64 s[0:1], -1
	s_mov_b64 s[2:3], 0
	s_waitcnt vmcnt(0)
	v_lshlrev_b32_e32 v3, 16, v3
	v_cvt_f64_f32_e32 v[4:5], v3
	s_branch .LBB9_646
.LBB9_642:
	s_mov_b64 s[8:9], -1
                                        ; implicit-def: $vgpr4_vgpr5
	s_branch .LBB9_647
.LBB9_643:
	s_or_saveexec_b64 s[10:11], s[10:11]
	v_pk_mov_b32 v[4:5], s[8:9], s[8:9] op_sel:[0,1]
	s_xor_b64 exec, exec, s[10:11]
	s_cbranch_execz .LBB9_624
.LBB9_644:
	v_cmp_ne_u16_e32 vcc, 0, v3
	s_andn2_b64 s[0:1], s[0:1], exec
	s_and_b64 s[8:9], vcc, exec
	v_pk_mov_b32 v[4:5], 0, 0
	s_or_b64 s[0:1], s[0:1], s[8:9]
	s_or_b64 exec, exec, s[10:11]
	s_and_saveexec_b64 s[8:9], s[0:1]
	s_cbranch_execnz .LBB9_625
	s_branch .LBB9_626
.LBB9_645:
	s_mov_b64 s[2:3], -1
                                        ; implicit-def: $vgpr4_vgpr5
.LBB9_646:
	s_mov_b64 s[8:9], 0
.LBB9_647:
	s_and_b64 vcc, exec, s[8:9]
	s_cbranch_vccz .LBB9_651
; %bb.648:
	v_cmp_eq_u16_e32 vcc, 11, v6
	s_cbranch_vccz .LBB9_650
; %bb.649:
	global_load_ubyte v3, v[0:1], off
	s_waitcnt vmcnt(1)
	v_mov_b32_e32 v5, 0x3ff00000
	v_mov_b32_e32 v4, 0
	s_mov_b64 s[0:1], -1
	s_mov_b64 s[2:3], 0
	s_waitcnt vmcnt(0)
	v_cmp_ne_u16_e32 vcc, 0, v3
	v_cndmask_b32_e32 v5, 0, v5, vcc
	s_branch .LBB9_651
.LBB9_650:
	s_mov_b64 s[2:3], -1
                                        ; implicit-def: $vgpr4_vgpr5
.LBB9_651:
	s_mov_b64 s[8:9], 0
.LBB9_652:
	s_and_b64 vcc, exec, s[8:9]
	s_cbranch_vccz .LBB9_701
; %bb.653:
	v_cmp_gt_i16_e32 vcc, 5, v6
	s_cbranch_vccnz .LBB9_658
; %bb.654:
	v_cmp_gt_i16_e32 vcc, 8, v6
	s_cbranch_vccnz .LBB9_659
	;; [unrolled: 3-line block ×3, first 2 shown]
; %bb.656:
	v_cmp_lt_i16_e32 vcc, 9, v6
	s_cbranch_vccz .LBB9_661
; %bb.657:
	global_load_dwordx2 v[4:5], v[0:1], off
	s_mov_b64 s[0:1], 0
	s_branch .LBB9_662
.LBB9_658:
	s_mov_b64 s[0:1], -1
                                        ; implicit-def: $vgpr4_vgpr5
	s_branch .LBB9_680
.LBB9_659:
	s_mov_b64 s[0:1], -1
                                        ; implicit-def: $vgpr4_vgpr5
	s_branch .LBB9_668
.LBB9_660:
	s_mov_b64 s[0:1], -1
                                        ; implicit-def: $vgpr4_vgpr5
	s_branch .LBB9_665
.LBB9_661:
	s_mov_b64 s[0:1], -1
                                        ; implicit-def: $vgpr4_vgpr5
.LBB9_662:
	s_andn2_b64 vcc, exec, s[0:1]
	s_cbranch_vccnz .LBB9_664
; %bb.663:
	global_load_dword v3, v[0:1], off
	s_waitcnt vmcnt(0)
	v_cvt_f64_f32_e32 v[4:5], v3
.LBB9_664:
	s_mov_b64 s[0:1], 0
.LBB9_665:
	s_andn2_b64 vcc, exec, s[0:1]
	s_cbranch_vccnz .LBB9_667
; %bb.666:
	global_load_dword v3, v[0:1], off
	s_waitcnt vmcnt(0)
	v_cvt_f32_f16_e32 v3, v3
	v_cvt_f64_f32_e32 v[4:5], v3
.LBB9_667:
	s_mov_b64 s[0:1], 0
.LBB9_668:
	s_andn2_b64 vcc, exec, s[0:1]
	s_cbranch_vccnz .LBB9_679
; %bb.669:
	v_cmp_gt_i16_e32 vcc, 6, v6
	s_cbranch_vccnz .LBB9_672
; %bb.670:
	v_cmp_lt_i16_e32 vcc, 6, v6
	s_cbranch_vccz .LBB9_673
; %bb.671:
	global_load_dwordx2 v[4:5], v[0:1], off
	s_mov_b64 s[0:1], 0
	s_branch .LBB9_674
.LBB9_672:
	s_mov_b64 s[0:1], -1
                                        ; implicit-def: $vgpr4_vgpr5
	s_branch .LBB9_677
.LBB9_673:
	s_mov_b64 s[0:1], -1
                                        ; implicit-def: $vgpr4_vgpr5
.LBB9_674:
	s_andn2_b64 vcc, exec, s[0:1]
	s_cbranch_vccnz .LBB9_676
; %bb.675:
	global_load_dword v3, v[0:1], off
	s_waitcnt vmcnt(0)
	v_cvt_f64_f32_e32 v[4:5], v3
.LBB9_676:
	s_mov_b64 s[0:1], 0
.LBB9_677:
	s_andn2_b64 vcc, exec, s[0:1]
	s_cbranch_vccnz .LBB9_679
; %bb.678:
	global_load_ushort v3, v[0:1], off
	s_waitcnt vmcnt(0)
	v_cvt_f32_f16_e32 v3, v3
	v_cvt_f64_f32_e32 v[4:5], v3
.LBB9_679:
	s_mov_b64 s[0:1], 0
.LBB9_680:
	s_andn2_b64 vcc, exec, s[0:1]
	s_cbranch_vccnz .LBB9_700
; %bb.681:
	v_cmp_gt_i16_e32 vcc, 2, v6
	s_cbranch_vccnz .LBB9_685
; %bb.682:
	v_cmp_gt_i16_e32 vcc, 3, v6
	s_cbranch_vccnz .LBB9_686
; %bb.683:
	v_cmp_lt_i16_e32 vcc, 3, v6
	s_cbranch_vccz .LBB9_687
; %bb.684:
	global_load_dwordx2 v[4:5], v[0:1], off
	s_mov_b64 s[0:1], 0
	s_waitcnt vmcnt(0)
	v_cvt_f64_i32_e32 v[10:11], v5
	v_cvt_f64_u32_e32 v[4:5], v4
	v_ldexp_f64 v[10:11], v[10:11], 32
	v_add_f64 v[4:5], v[10:11], v[4:5]
	s_branch .LBB9_688
.LBB9_685:
	s_mov_b64 s[0:1], -1
                                        ; implicit-def: $vgpr4_vgpr5
	s_branch .LBB9_694
.LBB9_686:
	s_mov_b64 s[0:1], -1
                                        ; implicit-def: $vgpr4_vgpr5
	s_branch .LBB9_691
.LBB9_687:
	s_mov_b64 s[0:1], -1
                                        ; implicit-def: $vgpr4_vgpr5
.LBB9_688:
	s_andn2_b64 vcc, exec, s[0:1]
	s_cbranch_vccnz .LBB9_690
; %bb.689:
	global_load_dword v3, v[0:1], off
	s_waitcnt vmcnt(0)
	v_cvt_f64_i32_e32 v[4:5], v3
.LBB9_690:
	s_mov_b64 s[0:1], 0
.LBB9_691:
	s_andn2_b64 vcc, exec, s[0:1]
	s_cbranch_vccnz .LBB9_693
; %bb.692:
	global_load_sshort v3, v[0:1], off
	s_waitcnt vmcnt(0)
	v_cvt_f64_i32_e32 v[4:5], v3
.LBB9_693:
	s_mov_b64 s[0:1], 0
.LBB9_694:
	s_andn2_b64 vcc, exec, s[0:1]
	s_cbranch_vccnz .LBB9_700
; %bb.695:
	v_cmp_lt_i16_e32 vcc, 0, v6
	s_cbranch_vccz .LBB9_697
; %bb.696:
	global_load_sbyte v3, v[0:1], off
	s_mov_b64 s[0:1], 0
	s_waitcnt vmcnt(0)
	v_cvt_f64_i32_e32 v[4:5], v3
	s_branch .LBB9_698
.LBB9_697:
	s_mov_b64 s[0:1], -1
                                        ; implicit-def: $vgpr4_vgpr5
.LBB9_698:
	s_andn2_b64 vcc, exec, s[0:1]
	s_cbranch_vccnz .LBB9_700
; %bb.699:
	global_load_ubyte v0, v[0:1], off
	s_waitcnt vmcnt(0)
	v_cvt_f64_u32_e32 v[4:5], v0
.LBB9_700:
	s_mov_b64 s[0:1], -1
.LBB9_701:
	s_andn2_b64 vcc, exec, s[0:1]
	s_cbranch_vccnz .LBB9_713
; %bb.702:
	s_mov_b32 s0, 0
	s_mov_b32 s1, 0x40200000
	s_waitcnt vmcnt(0)
	v_cmp_le_f64_e64 s[0:1], |v[4:5]|, s[0:1]
                                        ; implicit-def: $vgpr0_vgpr1
	s_and_saveexec_b64 s[8:9], s[0:1]
	s_xor_b64 s[0:1], exec, s[8:9]
	s_cbranch_execz .LBB9_704
; %bb.703:
	s_mov_b32 s8, 0x2134d0ef
	v_fma_f64 v[0:1], |v[4:5]|, 0.5, -2.0
	v_mov_b32_e32 v10, 0x977da589
	v_mov_b32_e32 v11, 0x3c833362
	s_mov_b32 s9, 0xbc545cb7
	v_fmac_f64_e32 v[10:11], s[8:9], v[0:1]
	v_mov_b32_e32 v12, 0x2134d0ef
	v_mov_b32_e32 v13, 0x3c545cb7
	s_mov_b32 s8, 0x721ebbb4
	v_fmac_f64_e32 v[12:13], v[0:1], v[10:11]
	s_mov_b32 s9, 0xbcb184eb
	v_add_f64 v[12:13], v[12:13], s[8:9]
	s_mov_b32 s8, 0x93f65eba
	v_fma_f64 v[10:11], v[0:1], v[12:13], -v[10:11]
	s_mov_b32 s9, 0x3cdee6d8
	v_add_f64 v[10:11], v[10:11], s[8:9]
	s_mov_b32 s8, 0xc297fbeb
	v_fma_f64 v[12:13], v[0:1], v[10:11], -v[12:13]
	;; [unrolled: 4-line block ×27, first 2 shown]
	s_mov_b32 s9, 0x3fe5a84e
	v_add_f64 v[0:1], v[0:1], s[8:9]
	s_mov_b32 s8, 0x652b82fe
	s_mov_b32 s9, 0x3ff71547
	v_mul_f64 v[12:13], |v[4:5]|, s[8:9]
	s_mov_b32 s8, 0xfefa39ef
	v_rndne_f64_e32 v[12:13], v[12:13]
	s_mov_b32 s9, 0xbfe62e42
	v_fma_f64 v[14:15], v[12:13], s[8:9], |v[4:5]|
	s_mov_b32 s8, 0x3b39803f
	s_mov_b32 s9, 0xbc7abc9e
	v_fmac_f64_e32 v[14:15], s[8:9], v[12:13]
	s_mov_b32 s8, 0x6a5dcb37
	v_mov_b32_e32 v16, 0xfca7ab0c
	v_mov_b32_e32 v17, 0x3e928af3
	s_mov_b32 s9, 0x3e5ade15
	v_fmac_f64_e32 v[16:17], s[8:9], v[14:15]
	v_mov_b32_e32 v18, 0x623fde64
	v_mov_b32_e32 v19, 0x3ec71dee
	v_fmac_f64_e32 v[18:19], v[14:15], v[16:17]
	v_mov_b32_e32 v16, 0x7c89e6b0
	v_mov_b32_e32 v17, 0x3efa0199
	;; [unrolled: 3-line block ×8, first 2 shown]
	v_fmac_f64_e32 v[16:17], v[14:15], v[18:19]
	v_fma_f64 v[16:17], v[14:15], v[16:17], 1.0
	s_mov_b32 s8, 0
	v_fma_f64 v[14:15], v[14:15], v[16:17], 1.0
	v_cvt_i32_f64_e32 v3, v[12:13]
	s_mov_b32 s9, 0x40900000
	v_ldexp_f64 v[12:13], v[14:15], v3
	v_mov_b32_e32 v3, 0x7ff00000
	v_cmp_ngt_f64_e64 vcc, |v[4:5]|, s[8:9]
	v_add_f64 v[0:1], v[0:1], -v[10:11]
	v_cndmask_b32_e32 v5, v3, v13, vcc
	v_cndmask_b32_e32 v4, 0, v12, vcc
	v_mul_f64 v[0:1], v[0:1], 0.5
	v_mul_f64 v[0:1], v[4:5], v[0:1]
                                        ; implicit-def: $vgpr4_vgpr5
.LBB9_704:
	s_andn2_saveexec_b64 s[0:1], s[0:1]
	s_cbranch_execz .LBB9_706
; %bb.705:
	s_mov_b32 s8, 0
	v_and_b32_e32 v1, 0x7fffffff, v5
	v_mov_b32_e32 v0, v4
	s_mov_b32 s9, 0x40400000
	v_div_scale_f64 v[10:11], s[10:11], v[0:1], v[0:1], s[8:9]
	v_rcp_f64_e32 v[12:13], v[10:11]
	v_div_scale_f64 v[0:1], vcc, s[8:9], v[0:1], s[8:9]
	v_mov_b32_e32 v16, 0xfca7ab0c
	v_fma_f64 v[14:15], -v[10:11], v[12:13], 1.0
	v_fmac_f64_e32 v[12:13], v[12:13], v[14:15]
	v_fma_f64 v[14:15], -v[10:11], v[12:13], 1.0
	v_fmac_f64_e32 v[12:13], v[12:13], v[14:15]
	v_mul_f64 v[14:15], v[0:1], v[12:13]
	v_fma_f64 v[0:1], -v[10:11], v[14:15], v[0:1]
	v_div_fmas_f64 v[0:1], v[0:1], v[12:13], v[14:15]
	v_div_fixup_f64 v[0:1], v[0:1], |v[4:5]|, s[8:9]
	s_mov_b32 s8, 0x54ca8b19
	v_add_f64 v[0:1], v[0:1], -2.0
	v_mov_b32_e32 v10, 0x66119130
	v_mov_b32_e32 v11, 0xbc5646da
	s_mov_b32 s9, 0xbc60adb7
	v_fmac_f64_e32 v[10:11], s[8:9], v[0:1]
	v_mov_b32_e32 v12, 0x54ca8b19
	v_mov_b32_e32 v13, 0x3c60adb7
	s_mov_b32 s8, 0x12d98421
	v_fmac_f64_e32 v[12:13], v[0:1], v[10:11]
	s_mov_b32 s9, 0x3c89be18
	v_add_f64 v[12:13], v[12:13], s[8:9]
	s_mov_b32 s8, 0x76041cd
	v_fma_f64 v[10:11], v[0:1], v[12:13], -v[10:11]
	s_mov_b32 s9, 0x3c83f3dd
	v_add_f64 v[10:11], v[10:11], s[8:9]
	s_mov_b32 s8, 0xabd21fe4
	v_fma_f64 v[12:13], v[0:1], v[10:11], -v[12:13]
	;; [unrolled: 4-line block ×22, first 2 shown]
	s_mov_b32 s9, 0x3fe9be62
	v_add_f64 v[0:1], v[0:1], s[8:9]
	s_mov_b32 s8, 0x652b82fe
	s_mov_b32 s9, 0x3ff71547
	v_mul_f64 v[10:11], |v[4:5]|, s[8:9]
	s_mov_b32 s8, 0xfefa39ef
	v_rndne_f64_e32 v[10:11], v[10:11]
	s_mov_b32 s9, 0xbfe62e42
	v_fma_f64 v[14:15], v[10:11], s[8:9], |v[4:5]|
	s_mov_b32 s8, 0x3b39803f
	s_mov_b32 s9, 0xbc7abc9e
	v_fmac_f64_e32 v[14:15], s[8:9], v[10:11]
	s_mov_b32 s8, 0x6a5dcb37
	v_mov_b32_e32 v17, 0x3e928af3
	s_mov_b32 s9, 0x3e5ade15
	v_fmac_f64_e32 v[16:17], s[8:9], v[14:15]
	v_mov_b32_e32 v18, 0x623fde64
	v_mov_b32_e32 v19, 0x3ec71dee
	v_fmac_f64_e32 v[18:19], v[14:15], v[16:17]
	v_mov_b32_e32 v16, 0x7c89e6b0
	v_mov_b32_e32 v17, 0x3efa0199
	;; [unrolled: 3-line block ×8, first 2 shown]
	v_fmac_f64_e32 v[16:17], v[14:15], v[18:19]
	s_mov_b32 s8, 0
	v_fma_f64 v[16:17], v[14:15], v[16:17], 1.0
	s_mov_b32 s9, 0x40900000
	v_fma_f64 v[14:15], v[14:15], v[16:17], 1.0
	v_cvt_i32_f64_e32 v3, v[10:11]
	v_cmp_ngt_f64_e64 vcc, |v[4:5]|, s[8:9]
	s_mov_b32 s8, 0
	v_ldexp_f64 v[10:11], v[14:15], v3
	v_mov_b32_e32 v3, 0x7ff00000
	s_brev_b32 s9, 8
	v_cndmask_b32_e32 v11, v3, v11, vcc
	v_cndmask_b32_e32 v10, 0, v10, vcc
	v_cmp_lt_f64_e64 vcc, |v[4:5]|, s[8:9]
	v_cndmask_b32_e64 v3, 0, 1, vcc
	v_lshlrev_b32_e32 v3, 8, v3
	v_ldexp_f64 v[4:5], |v[4:5]|, v3
	v_rsq_f64_e32 v[14:15], v[4:5]
	v_add_f64 v[0:1], v[0:1], -v[12:13]
	v_mul_f64 v[0:1], v[0:1], 0.5
	v_mul_f64 v[0:1], v[10:11], v[0:1]
	v_mul_f64 v[10:11], v[4:5], v[14:15]
	v_mul_f64 v[12:13], v[14:15], 0.5
	v_fma_f64 v[14:15], -v[12:13], v[10:11], 0.5
	v_fmac_f64_e32 v[10:11], v[10:11], v[14:15]
	v_fma_f64 v[16:17], -v[10:11], v[10:11], v[4:5]
	v_fmac_f64_e32 v[12:13], v[12:13], v[14:15]
	v_fmac_f64_e32 v[10:11], v[16:17], v[12:13]
	v_fma_f64 v[14:15], -v[10:11], v[10:11], v[4:5]
	v_mov_b32_e32 v3, 0xffffff80
	v_fmac_f64_e32 v[10:11], v[14:15], v[12:13]
	v_cndmask_b32_e32 v3, 0, v3, vcc
	v_ldexp_f64 v[10:11], v[10:11], v3
	v_mov_b32_e32 v3, 0x260
	v_cmp_class_f64_e32 vcc, v[4:5], v3
	v_cndmask_b32_e32 v5, v11, v5, vcc
	v_cndmask_b32_e32 v4, v10, v4, vcc
	v_div_scale_f64 v[10:11], s[8:9], v[4:5], v[4:5], v[0:1]
	v_rcp_f64_e32 v[12:13], v[10:11]
	v_fma_f64 v[14:15], -v[10:11], v[12:13], 1.0
	v_fmac_f64_e32 v[12:13], v[12:13], v[14:15]
	v_fma_f64 v[14:15], -v[10:11], v[12:13], 1.0
	v_fmac_f64_e32 v[12:13], v[12:13], v[14:15]
	v_div_scale_f64 v[14:15], vcc, v[0:1], v[4:5], v[0:1]
	v_mul_f64 v[16:17], v[14:15], v[12:13]
	v_fma_f64 v[10:11], -v[10:11], v[16:17], v[14:15]
	s_nop 1
	v_div_fmas_f64 v[10:11], v[10:11], v[12:13], v[16:17]
	v_div_fixup_f64 v[0:1], v[10:11], v[4:5], v[0:1]
.LBB9_706:
	s_or_b64 exec, exec, s[0:1]
	v_mov_b32_e32 v3, s25
	v_add_co_u32_e32 v4, vcc, s24, v2
	v_mov_b32_e32 v2, 11
	v_addc_co_u32_e32 v5, vcc, 0, v3, vcc
	v_cmp_lt_i16_sdwa s[0:1], v8, v2 src0_sel:BYTE_0 src1_sel:DWORD
	s_and_b64 vcc, exec, s[0:1]
	s_cbranch_vccnz .LBB9_714
; %bb.707:
	v_mov_b32_e32 v2, 25
	v_cmp_gt_i16_sdwa s[0:1], v8, v2 src0_sel:BYTE_0 src1_sel:DWORD
	s_and_b64 vcc, exec, s[0:1]
	s_cbranch_vccz .LBB9_715
; %bb.708:
	v_mov_b32_e32 v2, 28
	v_cmp_gt_i16_sdwa s[0:1], v8, v2 src0_sel:BYTE_0 src1_sel:DWORD
	s_and_b64 vcc, exec, s[0:1]
	s_cbranch_vccz .LBB9_716
	;; [unrolled: 5-line block ×4, first 2 shown]
; %bb.711:
	v_mov_b32_e32 v2, 46
	v_cmp_eq_u16_sdwa s[8:9], v8, v2 src0_sel:BYTE_0 src1_sel:DWORD
	s_mov_b64 s[10:11], 0
	s_mov_b64 s[0:1], -1
	s_and_b64 vcc, exec, s[8:9]
	s_mov_b64 s[8:9], 0
	s_cbranch_vccz .LBB9_719
; %bb.712:
	v_cvt_f32_f64_e32 v2, v[0:1]
	v_bfe_u32 v3, v2, 16, 1
	s_movk_i32 s0, 0x7fff
	v_add3_u32 v3, v2, v3, s0
	v_lshrrev_b32_e32 v3, 16, v3
	v_mov_b32_e32 v7, 0x7fc0
	v_cmp_o_f32_e32 vcc, v2, v2
	v_cndmask_b32_e32 v2, v7, v3, vcc
	global_store_dword v[4:5], v2, off
	s_mov_b64 s[8:9], -1
	s_mov_b64 s[0:1], 0
	s_branch .LBB9_719
.LBB9_713:
	s_mov_b64 s[8:9], 0
	s_mov_b64 s[0:1], s[60:61]
	s_branch .LBB9_830
.LBB9_714:
	s_mov_b64 s[10:11], -1
	s_mov_b64 s[8:9], 0
	s_mov_b64 s[0:1], s[60:61]
	s_branch .LBB9_788
.LBB9_715:
	s_mov_b64 s[10:11], -1
	s_mov_b64 s[8:9], 0
	s_mov_b64 s[0:1], s[60:61]
	s_branch .LBB9_746
.LBB9_716:
	s_mov_b64 s[10:11], -1
	s_mov_b64 s[8:9], 0
	s_mov_b64 s[0:1], s[60:61]
	s_branch .LBB9_729
.LBB9_717:
	s_mov_b64 s[10:11], -1
	s_mov_b64 s[8:9], 0
	s_mov_b64 s[0:1], s[60:61]
	s_branch .LBB9_725
.LBB9_718:
	s_mov_b64 s[10:11], -1
	s_mov_b64 s[8:9], 0
	s_mov_b64 s[0:1], s[60:61]
.LBB9_719:
	s_and_b64 vcc, exec, s[10:11]
	s_cbranch_vccz .LBB9_724
; %bb.720:
	v_mov_b32_e32 v2, 44
	v_cmp_eq_u16_sdwa s[10:11], v8, v2 src0_sel:BYTE_0 src1_sel:DWORD
	s_mov_b64 s[0:1], -1
	s_and_b64 vcc, exec, s[10:11]
	s_cbranch_vccz .LBB9_724
; %bb.721:
	v_cvt_f32_f64_e32 v2, v[0:1]
	v_bfe_u32 v3, v2, 23, 8
	s_movk_i32 s0, 0xff
	v_cmp_ne_u32_e32 vcc, s0, v3
	v_mov_b32_e32 v7, 0xff
	s_and_saveexec_b64 s[8:9], vcc
; %bb.722:
	s_mov_b32 s0, 0x3fffff
	v_lshrrev_b32_e32 v7, 23, v2
	v_and_b32_e32 v10, 0x400000, v2
	v_and_or_b32 v2, v2, s0, v3
	v_cmp_ne_u32_e32 vcc, 0, v10
	v_cmp_ne_u32_e64 s[0:1], 0, v2
	s_and_b64 s[0:1], vcc, s[0:1]
	v_cndmask_b32_e64 v2, 0, 1, s[0:1]
	v_add_u32_e32 v7, v7, v2
; %bb.723:
	s_or_b64 exec, exec, s[8:9]
	s_mov_b64 s[8:9], -1
	s_mov_b64 s[0:1], 0
	global_store_byte v[4:5], v7, off
.LBB9_724:
	s_mov_b64 s[10:11], 0
.LBB9_725:
	s_and_b64 vcc, exec, s[10:11]
	s_cbranch_vccz .LBB9_728
; %bb.726:
	v_mov_b32_e32 v2, 29
	v_cmp_eq_u16_sdwa s[10:11], v8, v2 src0_sel:BYTE_0 src1_sel:DWORD
	s_mov_b64 s[0:1], -1
	s_and_b64 vcc, exec, s[10:11]
	s_cbranch_vccz .LBB9_728
; %bb.727:
	v_trunc_f64_e32 v[2:3], v[0:1]
	s_movk_i32 s0, 0xffe0
	v_ldexp_f64 v[10:11], v[2:3], s0
	v_floor_f64_e32 v[10:11], v[10:11]
	v_fmac_f64_e32 v[2:3], 0xc1f00000, v[10:11]
	v_cvt_u32_f64_e32 v13, v[10:11]
	v_cvt_u32_f64_e32 v12, v[2:3]
	global_store_dwordx2 v[4:5], v[12:13], off
	s_mov_b64 s[8:9], -1
	s_mov_b64 s[0:1], 0
.LBB9_728:
	s_mov_b64 s[10:11], 0
.LBB9_729:
	s_and_b64 vcc, exec, s[10:11]
	s_cbranch_vccz .LBB9_745
; %bb.730:
	v_mov_b32_e32 v2, 27
	v_cmp_lt_i16_sdwa s[10:11], v8, v2 src0_sel:BYTE_0 src1_sel:DWORD
	s_mov_b64 s[8:9], -1
	s_and_b64 vcc, exec, s[10:11]
	s_cbranch_vccnz .LBB9_736
; %bb.731:
	v_cmp_gt_i16_sdwa s[10:11], v8, v2 src0_sel:BYTE_0 src1_sel:DWORD
	s_and_b64 vcc, exec, s[10:11]
	v_cvt_u32_f64_e32 v2, v[0:1]
	s_cbranch_vccz .LBB9_733
; %bb.732:
	s_mov_b64 s[8:9], 0
	global_store_dword v[4:5], v2, off
.LBB9_733:
	s_andn2_b64 vcc, exec, s[8:9]
	s_cbranch_vccnz .LBB9_735
; %bb.734:
	global_store_short v[4:5], v2, off
.LBB9_735:
	s_mov_b64 s[8:9], 0
.LBB9_736:
	s_andn2_b64 vcc, exec, s[8:9]
	s_cbranch_vccnz .LBB9_744
; %bb.737:
	v_cvt_f32_f64_e32 v2, v[0:1]
	v_and_b32_e32 v3, 0x7fffffff, v2
	s_mov_b32 s8, 0x43800000
	v_cmp_gt_u32_e32 vcc, s8, v3
	v_mov_b32_e32 v7, 0x80
	s_and_saveexec_b64 s[8:9], vcc
	s_cbranch_execz .LBB9_743
; %bb.738:
	s_mov_b32 s10, 0x3bffffff
	v_cmp_lt_u32_e32 vcc, s10, v3
	s_mov_b64 s[10:11], 0
                                        ; implicit-def: $vgpr3
	s_and_saveexec_b64 s[12:13], vcc
	s_xor_b64 s[12:13], exec, s[12:13]
	s_cbranch_execz .LBB9_861
; %bb.739:
	v_bfe_u32 v3, v2, 20, 1
	s_mov_b32 s14, 0x487ffff
	v_add3_u32 v3, v2, v3, s14
	s_mov_b64 s[10:11], exec
	v_lshrrev_b32_e32 v3, 20, v3
	s_or_saveexec_b64 s[12:13], s[12:13]
                                        ; implicit-def: $sgpr14
	s_xor_b64 exec, exec, s[12:13]
	s_cbranch_execnz .LBB9_862
.LBB9_740:
	s_or_b64 exec, exec, s[12:13]
	v_mov_b32_e32 v7, s14
	s_and_saveexec_b64 s[12:13], s[10:11]
.LBB9_741:
	v_lshrrev_b32_e32 v2, 24, v2
	s_movk_i32 s10, 0x80
	v_and_or_b32 v7, v2, s10, v3
.LBB9_742:
	s_or_b64 exec, exec, s[12:13]
.LBB9_743:
	s_or_b64 exec, exec, s[8:9]
	global_store_byte v[4:5], v7, off
.LBB9_744:
	s_mov_b64 s[8:9], -1
.LBB9_745:
	s_mov_b64 s[10:11], 0
.LBB9_746:
	s_and_b64 vcc, exec, s[10:11]
	s_cbranch_vccz .LBB9_787
; %bb.747:
	v_mov_b32_e32 v2, 22
	v_cmp_gt_i16_sdwa s[12:13], v8, v2 src0_sel:BYTE_0 src1_sel:DWORD
	s_mov_b64 s[10:11], -1
	s_and_b64 vcc, exec, s[12:13]
	s_cbranch_vccz .LBB9_779
; %bb.748:
	v_mov_b32_e32 v2, 24
	v_cmp_lt_i16_sdwa s[10:11], v8, v2 src0_sel:BYTE_0 src1_sel:DWORD
	s_mov_b64 s[8:9], -1
	s_and_b64 vcc, exec, s[10:11]
	s_cbranch_vccnz .LBB9_768
; %bb.749:
	v_cmp_gt_i16_sdwa s[10:11], v8, v2 src0_sel:BYTE_0 src1_sel:DWORD
	s_and_b64 vcc, exec, s[10:11]
	s_cbranch_vccz .LBB9_757
; %bb.750:
	v_cvt_f32_f64_e32 v2, v[0:1]
	v_and_b32_e32 v3, 0x7fffffff, v2
	s_mov_b32 s8, 0x47800000
	v_cmp_gt_u32_e32 vcc, s8, v3
	v_mov_b32_e32 v7, 0x80
	s_and_saveexec_b64 s[8:9], vcc
	s_cbranch_execz .LBB9_756
; %bb.751:
	s_mov_b32 s10, 0x37ffffff
	v_cmp_lt_u32_e32 vcc, s10, v3
	s_mov_b64 s[10:11], 0
                                        ; implicit-def: $vgpr3
	s_and_saveexec_b64 s[12:13], vcc
	s_xor_b64 s[12:13], exec, s[12:13]
	s_cbranch_execz .LBB9_864
; %bb.752:
	v_bfe_u32 v3, v2, 21, 1
	s_mov_b32 s14, 0x88fffff
	v_add3_u32 v3, v2, v3, s14
	s_mov_b64 s[10:11], exec
	v_lshrrev_b32_e32 v3, 21, v3
	s_or_saveexec_b64 s[12:13], s[12:13]
                                        ; implicit-def: $sgpr14
	s_xor_b64 exec, exec, s[12:13]
	s_cbranch_execnz .LBB9_865
.LBB9_753:
	s_or_b64 exec, exec, s[12:13]
	v_mov_b32_e32 v7, s14
	s_and_saveexec_b64 s[12:13], s[10:11]
.LBB9_754:
	v_lshrrev_b32_e32 v2, 24, v2
	s_movk_i32 s10, 0x80
	v_and_or_b32 v7, v2, s10, v3
.LBB9_755:
	s_or_b64 exec, exec, s[12:13]
.LBB9_756:
	s_or_b64 exec, exec, s[8:9]
	s_mov_b64 s[8:9], 0
	global_store_byte v[4:5], v7, off
.LBB9_757:
	s_and_b64 vcc, exec, s[8:9]
	s_cbranch_vccz .LBB9_767
; %bb.758:
	v_cvt_f32_f64_e32 v2, v[0:1]
	v_and_b32_e32 v7, 0x7fffffff, v2
	s_mov_b32 s8, 0x43f00000
	v_cmp_gt_u32_e32 vcc, s8, v7
                                        ; implicit-def: $vgpr3
	s_and_saveexec_b64 s[8:9], vcc
	s_xor_b64 s[8:9], exec, s[8:9]
	s_cbranch_execz .LBB9_764
; %bb.759:
	s_mov_b32 s10, 0x3c7fffff
	v_cmp_lt_u32_e32 vcc, s10, v7
                                        ; implicit-def: $vgpr3
	s_and_saveexec_b64 s[10:11], vcc
	s_xor_b64 s[10:11], exec, s[10:11]
; %bb.760:
	v_bfe_u32 v3, v2, 20, 1
	s_mov_b32 s12, 0x407ffff
	v_add3_u32 v3, v2, v3, s12
	v_lshrrev_b32_e32 v7, 20, v3
	v_and_b32_e32 v3, 0xff00000, v3
	s_mov_b32 s12, 0x7f00000
	v_mov_b32_e32 v10, 0x7e
	v_cmp_ne_u32_e32 vcc, s12, v3
	v_cndmask_b32_e32 v3, v10, v7, vcc
; %bb.761:
	s_andn2_saveexec_b64 s[10:11], s[10:11]
; %bb.762:
	s_mov_b32 s12, 0x46800000
	v_add_f32_e64 v3, |v2|, s12
; %bb.763:
	s_or_b64 exec, exec, s[10:11]
                                        ; implicit-def: $vgpr7
.LBB9_764:
	s_andn2_saveexec_b64 s[8:9], s[8:9]
; %bb.765:
	s_mov_b32 s10, 0x7f800000
	v_mov_b32_e32 v3, 0x7e
	v_mov_b32_e32 v10, 0x7f
	v_cmp_lt_u32_e32 vcc, s10, v7
	v_cndmask_b32_e32 v3, v3, v10, vcc
; %bb.766:
	s_or_b64 exec, exec, s[8:9]
	v_lshrrev_b32_e32 v2, 24, v2
	s_movk_i32 s8, 0x80
	v_and_or_b32 v2, v2, s8, v3
	global_store_byte v[4:5], v2, off
.LBB9_767:
	s_mov_b64 s[8:9], 0
.LBB9_768:
	s_andn2_b64 vcc, exec, s[8:9]
	s_cbranch_vccnz .LBB9_778
; %bb.769:
	v_cvt_f32_f64_e32 v2, v[0:1]
	v_and_b32_e32 v7, 0x7fffffff, v2
	s_mov_b32 s8, 0x47800000
	v_cmp_gt_u32_e32 vcc, s8, v7
                                        ; implicit-def: $vgpr3
	s_and_saveexec_b64 s[8:9], vcc
	s_xor_b64 s[8:9], exec, s[8:9]
	s_cbranch_execz .LBB9_775
; %bb.770:
	s_mov_b32 s10, 0x387fffff
	v_cmp_lt_u32_e32 vcc, s10, v7
                                        ; implicit-def: $vgpr3
	s_and_saveexec_b64 s[10:11], vcc
	s_xor_b64 s[10:11], exec, s[10:11]
; %bb.771:
	v_bfe_u32 v3, v2, 21, 1
	s_mov_b32 s12, 0x80fffff
	v_add3_u32 v3, v2, v3, s12
	v_lshrrev_b32_e32 v3, 21, v3
; %bb.772:
	s_andn2_saveexec_b64 s[10:11], s[10:11]
; %bb.773:
	s_mov_b32 s12, 0x43000000
	v_add_f32_e64 v3, |v2|, s12
; %bb.774:
	s_or_b64 exec, exec, s[10:11]
                                        ; implicit-def: $vgpr7
.LBB9_775:
	s_andn2_saveexec_b64 s[8:9], s[8:9]
; %bb.776:
	s_mov_b32 s10, 0x7f800000
	v_mov_b32_e32 v3, 0x7c
	v_mov_b32_e32 v10, 0x7f
	v_cmp_lt_u32_e32 vcc, s10, v7
	v_cndmask_b32_e32 v3, v3, v10, vcc
; %bb.777:
	s_or_b64 exec, exec, s[8:9]
	v_lshrrev_b32_e32 v2, 24, v2
	s_movk_i32 s8, 0x80
	v_and_or_b32 v2, v2, s8, v3
	global_store_byte v[4:5], v2, off
.LBB9_778:
	s_mov_b64 s[10:11], 0
	s_mov_b64 s[8:9], -1
.LBB9_779:
	s_andn2_b64 vcc, exec, s[10:11]
	s_cbranch_vccnz .LBB9_787
; %bb.780:
	v_mov_b32_e32 v2, 14
	v_cmp_gt_i16_sdwa s[12:13], v8, v2 src0_sel:BYTE_0 src1_sel:DWORD
	s_mov_b64 s[10:11], -1
	s_and_b64 vcc, exec, s[12:13]
	s_cbranch_vccz .LBB9_784
; %bb.781:
	v_mov_b32_e32 v2, 15
	v_cmp_eq_u16_sdwa s[10:11], v8, v2 src0_sel:BYTE_0 src1_sel:DWORD
	s_mov_b64 s[0:1], -1
	s_and_b64 vcc, exec, s[10:11]
	s_cbranch_vccz .LBB9_783
; %bb.782:
	v_cvt_f32_f64_e32 v2, v[0:1]
	v_bfe_u32 v3, v2, 16, 1
	s_movk_i32 s0, 0x7fff
	v_add3_u32 v3, v2, v3, s0
	v_lshrrev_b32_e32 v3, 16, v3
	v_mov_b32_e32 v7, 0x7fc0
	v_cmp_o_f32_e32 vcc, v2, v2
	v_cndmask_b32_e32 v2, v7, v3, vcc
	global_store_short v[4:5], v2, off
	s_mov_b64 s[8:9], -1
	s_mov_b64 s[0:1], 0
.LBB9_783:
	s_mov_b64 s[10:11], 0
.LBB9_784:
	s_and_b64 vcc, exec, s[10:11]
	s_cbranch_vccz .LBB9_787
; %bb.785:
	v_mov_b32_e32 v2, 11
	v_cmp_eq_u16_sdwa s[10:11], v8, v2 src0_sel:BYTE_0 src1_sel:DWORD
	s_mov_b64 s[0:1], -1
	s_and_b64 vcc, exec, s[10:11]
	s_cbranch_vccz .LBB9_787
; %bb.786:
	v_cmp_neq_f64_e32 vcc, 0, v[0:1]
	s_mov_b64 s[0:1], 0
	v_cndmask_b32_e64 v2, 0, 1, vcc
	s_mov_b64 s[8:9], -1
	global_store_byte v[4:5], v2, off
.LBB9_787:
	s_mov_b64 s[10:11], 0
.LBB9_788:
	s_and_b64 vcc, exec, s[10:11]
	s_cbranch_vccz .LBB9_827
; %bb.789:
	v_mov_b32_e32 v2, 5
	v_cmp_lt_i16_sdwa s[10:11], v8, v2 src0_sel:BYTE_0 src1_sel:DWORD
	s_mov_b64 s[8:9], -1
	s_and_b64 vcc, exec, s[10:11]
	s_cbranch_vccnz .LBB9_810
; %bb.790:
	v_mov_b32_e32 v2, 8
	v_cmp_lt_i16_sdwa s[10:11], v8, v2 src0_sel:BYTE_0 src1_sel:DWORD
	s_and_b64 vcc, exec, s[10:11]
	s_cbranch_vccnz .LBB9_800
; %bb.791:
	v_mov_b32_e32 v2, 9
	v_cmp_lt_i16_sdwa s[10:11], v8, v2 src0_sel:BYTE_0 src1_sel:DWORD
	s_and_b64 vcc, exec, s[10:11]
	s_cbranch_vccnz .LBB9_797
; %bb.792:
	v_cmp_gt_i16_sdwa s[10:11], v8, v2 src0_sel:BYTE_0 src1_sel:DWORD
	s_and_b64 vcc, exec, s[10:11]
	s_cbranch_vccz .LBB9_794
; %bb.793:
	v_mov_b32_e32 v2, 0
	v_mov_b32_e32 v3, v2
	s_mov_b64 s[8:9], 0
	global_store_dwordx4 v[4:5], v[0:3], off
.LBB9_794:
	s_andn2_b64 vcc, exec, s[8:9]
	s_cbranch_vccnz .LBB9_796
; %bb.795:
	v_cvt_f32_f64_e32 v2, v[0:1]
	v_mov_b32_e32 v3, 0
	global_store_dwordx2 v[4:5], v[2:3], off
.LBB9_796:
	s_mov_b64 s[8:9], 0
.LBB9_797:
	s_andn2_b64 vcc, exec, s[8:9]
	s_cbranch_vccnz .LBB9_799
; %bb.798:
	v_cvt_f32_f64_e32 v2, v[0:1]
	v_cvt_f16_f32_e32 v2, v2
	global_store_dword v[4:5], v2, off
.LBB9_799:
	s_mov_b64 s[8:9], 0
.LBB9_800:
	s_andn2_b64 vcc, exec, s[8:9]
	s_cbranch_vccnz .LBB9_809
; %bb.801:
	v_mov_b32_e32 v2, 6
	v_cmp_lt_i16_sdwa s[10:11], v8, v2 src0_sel:BYTE_0 src1_sel:DWORD
	s_mov_b64 s[8:9], -1
	s_and_b64 vcc, exec, s[10:11]
	s_cbranch_vccnz .LBB9_807
; %bb.802:
	v_cmp_gt_i16_sdwa s[10:11], v8, v2 src0_sel:BYTE_0 src1_sel:DWORD
	s_and_b64 vcc, exec, s[10:11]
	s_cbranch_vccz .LBB9_804
; %bb.803:
	s_mov_b64 s[8:9], 0
	global_store_dwordx2 v[4:5], v[0:1], off
.LBB9_804:
	s_andn2_b64 vcc, exec, s[8:9]
	s_cbranch_vccnz .LBB9_806
; %bb.805:
	v_cvt_f32_f64_e32 v2, v[0:1]
	global_store_dword v[4:5], v2, off
.LBB9_806:
	s_mov_b64 s[8:9], 0
.LBB9_807:
	s_andn2_b64 vcc, exec, s[8:9]
	s_cbranch_vccnz .LBB9_809
; %bb.808:
	v_cvt_f32_f64_e32 v2, v[0:1]
	v_cvt_f16_f32_e32 v2, v2
	global_store_short v[4:5], v2, off
.LBB9_809:
	s_mov_b64 s[8:9], 0
.LBB9_810:
	s_andn2_b64 vcc, exec, s[8:9]
	s_cbranch_vccnz .LBB9_826
; %bb.811:
	v_mov_b32_e32 v2, 2
	v_cmp_lt_i16_sdwa s[10:11], v8, v2 src0_sel:BYTE_0 src1_sel:DWORD
	s_mov_b64 s[8:9], -1
	s_and_b64 vcc, exec, s[10:11]
	s_cbranch_vccnz .LBB9_821
; %bb.812:
	v_mov_b32_e32 v2, 3
	v_cmp_lt_i16_sdwa s[10:11], v8, v2 src0_sel:BYTE_0 src1_sel:DWORD
	s_and_b64 vcc, exec, s[10:11]
	s_cbranch_vccnz .LBB9_818
; %bb.813:
	v_cmp_gt_i16_sdwa s[10:11], v8, v2 src0_sel:BYTE_0 src1_sel:DWORD
	s_and_b64 vcc, exec, s[10:11]
	s_cbranch_vccz .LBB9_815
; %bb.814:
	v_trunc_f64_e32 v[2:3], v[0:1]
	s_movk_i32 s8, 0xffe0
	v_ldexp_f64 v[10:11], v[2:3], s8
	v_floor_f64_e32 v[10:11], v[10:11]
	v_fmac_f64_e32 v[2:3], 0xc1f00000, v[10:11]
	v_cvt_i32_f64_e32 v13, v[10:11]
	v_cvt_u32_f64_e32 v12, v[2:3]
	s_mov_b64 s[8:9], 0
	global_store_dwordx2 v[4:5], v[12:13], off
.LBB9_815:
	s_andn2_b64 vcc, exec, s[8:9]
	s_cbranch_vccnz .LBB9_817
; %bb.816:
	v_cvt_i32_f64_e32 v2, v[0:1]
	global_store_dword v[4:5], v2, off
.LBB9_817:
	s_mov_b64 s[8:9], 0
.LBB9_818:
	s_andn2_b64 vcc, exec, s[8:9]
	s_cbranch_vccnz .LBB9_820
; %bb.819:
	v_cvt_i32_f64_e32 v2, v[0:1]
	global_store_short v[4:5], v2, off
.LBB9_820:
	s_mov_b64 s[8:9], 0
.LBB9_821:
	s_andn2_b64 vcc, exec, s[8:9]
	s_cbranch_vccnz .LBB9_826
; %bb.822:
	v_mov_b32_e32 v2, 0
	v_cmp_gt_i16_sdwa s[10:11], v8, v2 src0_sel:BYTE_0 src1_sel:DWORD
	s_mov_b64 s[8:9], -1
	s_and_b64 vcc, exec, s[10:11]
	s_cbranch_vccz .LBB9_824
; %bb.823:
	v_cvt_i32_f64_e32 v2, v[0:1]
	s_mov_b64 s[8:9], 0
	global_store_byte v[4:5], v2, off
.LBB9_824:
	s_andn2_b64 vcc, exec, s[8:9]
	s_cbranch_vccnz .LBB9_826
; %bb.825:
	v_trunc_f64_e32 v[0:1], v[0:1]
	s_movk_i32 s8, 0xffe0
	v_ldexp_f64 v[2:3], v[0:1], s8
	v_floor_f64_e32 v[2:3], v[2:3]
	v_fmac_f64_e32 v[0:1], 0xc1f00000, v[2:3]
	v_cvt_u32_f64_e32 v0, v[0:1]
	global_store_byte v[4:5], v0, off
.LBB9_826:
	s_mov_b64 s[8:9], -1
.LBB9_827:
	s_andn2_b64 vcc, exec, s[8:9]
	s_cbranch_vccnz .LBB9_829
; %bb.828:
	v_add_u32_e32 v9, 0x80, v9
	s_mov_b64 s[8:9], -1
	s_branch .LBB9_831
.LBB9_829:
	s_mov_b64 s[8:9], 0
.LBB9_830:
                                        ; implicit-def: $vgpr9
.LBB9_831:
	s_andn2_b64 s[10:11], s[60:61], exec
	s_and_b64 s[0:1], s[0:1], exec
	s_or_b64 s[68:69], s[10:11], s[0:1]
	s_andn2_b64 s[0:1], s[58:59], exec
	s_and_b64 s[2:3], s[2:3], exec
	s_or_b64 s[66:67], s[0:1], s[2:3]
	s_orn2_b64 s[2:3], s[8:9], exec
.LBB9_832:
	s_or_b64 exec, exec, s[64:65]
	s_mov_b64 s[0:1], 0
	s_mov_b64 s[8:9], 0
	;; [unrolled: 1-line block ×3, first 2 shown]
                                        ; implicit-def: $vgpr0_vgpr1
                                        ; implicit-def: $vgpr2
                                        ; implicit-def: $vgpr4_vgpr5
	s_and_saveexec_b64 s[64:65], s[2:3]
	s_cbranch_execz .LBB9_932
; %bb.833:
	v_cmp_gt_i32_e32 vcc, s72, v9
	s_mov_b64 s[2:3], 0
	s_mov_b64 s[12:13], s[66:67]
                                        ; implicit-def: $vgpr0_vgpr1
                                        ; implicit-def: $vgpr2
                                        ; implicit-def: $vgpr4_vgpr5
	s_and_saveexec_b64 s[70:71], vcc
	s_cbranch_execz .LBB9_931
; %bb.834:
	s_andn2_b64 vcc, exec, s[40:41]
	s_cbranch_vccnz .LBB9_840
; %bb.835:
	s_mov_b32 s72, 0
	s_andn2_b64 vcc, exec, s[50:51]
	v_mov_b32_e32 v0, 0
	v_mov_b32_e32 v2, 0
	s_cbranch_vccnz .LBB9_846
; %bb.836:
	s_add_i32 s75, s73, 1
	s_cmp_eq_u32 s74, 2
	s_cbranch_scc1 .LBB9_841
; %bb.837:
	s_and_b32 s72, s75, 28
	s_mov_b32 s73, 0
	v_mov_b32_e32 v2, 0
	s_mov_b64 s[50:51], s[34:35]
	v_mov_b32_e32 v1, v9
	v_mov_b32_e32 v0, 0
.LBB9_838:                              ; =>This Inner Loop Header: Depth=1
	s_load_dwordx8 s[16:23], s[50:51], 0x4
	s_load_dwordx4 s[0:3], s[50:51], 0x24
	s_load_dwordx8 s[8:15], s[48:49], 0x0
	s_add_u32 s50, s50, 48
	s_addc_u32 s51, s51, 0
	s_waitcnt lgkmcnt(0)
	v_mul_hi_u32 v3, s17, v1
	v_add_u32_e32 v3, v1, v3
	v_lshrrev_b32_e32 v3, s18, v3
	s_waitcnt vmcnt(0)
	v_mul_lo_u32 v4, v3, s16
	v_mul_hi_u32 v5, s20, v3
	v_sub_u32_e32 v1, v1, v4
	v_add_u32_e32 v4, v3, v5
	v_lshrrev_b32_e32 v4, s21, v4
	v_mul_lo_u32 v7, v4, s19
	v_mul_hi_u32 v10, s23, v4
	v_sub_u32_e32 v3, v3, v7
	v_add_u32_e32 v7, v4, v10
	v_mul_lo_u32 v5, v1, s9
	v_mul_lo_u32 v1, v1, s8
	;; [unrolled: 1-line block ×4, first 2 shown]
	v_lshrrev_b32_e32 v7, s0, v7
	v_add3_u32 v2, v1, v2, v3
	v_mul_lo_u32 v1, v7, s22
	v_mul_hi_u32 v3, s2, v7
	v_sub_u32_e32 v1, v4, v1
	v_add_u32_e32 v3, v7, v3
	v_add3_u32 v0, v5, v0, v10
	v_mul_lo_u32 v4, v1, s12
	v_mul_lo_u32 v5, v1, s13
	v_lshrrev_b32_e32 v1, s3, v3
	s_add_i32 s73, s73, 4
	v_mul_lo_u32 v3, v1, s1
	s_add_u32 s48, s48, 32
	v_sub_u32_e32 v3, v7, v3
	s_addc_u32 s49, s49, 0
	v_mul_lo_u32 v7, v3, s14
	v_mul_lo_u32 v3, v3, s15
	s_cmp_eq_u32 s72, s73
	v_add3_u32 v0, v5, v0, v3
	v_add3_u32 v2, v4, v2, v7
	s_cbranch_scc0 .LBB9_838
; %bb.839:
	v_mov_b32_e32 v3, v0
	s_branch .LBB9_842
.LBB9_840:
	s_mov_b64 s[0:1], -1
                                        ; implicit-def: $vgpr0
                                        ; implicit-def: $vgpr2
	s_branch .LBB9_847
.LBB9_841:
	s_mov_b32 s73, s72
	v_pk_mov_b32 v[2:3], s[72:73], s[72:73] op_sel:[0,1]
                                        ; implicit-def: $vgpr0
	v_mov_b32_e32 v1, v9
.LBB9_842:
	s_and_b32 s8, s75, 3
	s_cmp_eq_u32 s8, 0
	s_cbranch_scc1 .LBB9_846
; %bb.843:
	s_lshl_b32 s0, s72, 3
	s_add_u32 s0, s0, s34
	s_addc_u32 s1, s35, 0
	s_add_u32 s0, s0, 0xc4
	s_addc_u32 s1, s1, 0
	s_mul_i32 s2, s72, 12
	s_add_u32 s2, s34, s2
	s_addc_u32 s3, s35, 0
.LBB9_844:                              ; =>This Inner Loop Header: Depth=1
	s_load_dwordx2 s[10:11], s[2:3], 0x4
	s_load_dword s9, s[2:3], 0xc
	s_load_dwordx2 s[12:13], s[0:1], 0x0
	v_mov_b32_e32 v0, v3
	s_add_u32 s2, s2, 12
	s_waitcnt lgkmcnt(0)
	v_mul_hi_u32 v3, s11, v1
	v_add_u32_e32 v3, v1, v3
	v_lshrrev_b32_e32 v3, s9, v3
	s_addc_u32 s3, s3, 0
	s_waitcnt vmcnt(0)
	v_mul_lo_u32 v4, v3, s10
	s_add_u32 s0, s0, 8
	v_sub_u32_e32 v7, v1, v4
	v_mov_b32_e32 v1, v3
	s_addc_u32 s1, s1, 0
	s_add_i32 s8, s8, -1
	v_mad_u64_u32 v[4:5], s[10:11], v7, s13, v[0:1]
	v_mad_u64_u32 v[2:3], s[10:11], v7, s12, v[2:3]
	s_cmp_lg_u32 s8, 0
	v_mov_b32_e32 v3, v4
	s_cbranch_scc1 .LBB9_844
; %bb.845:
	v_mov_b32_e32 v0, v3
.LBB9_846:
	s_mov_b64 s[0:1], 0
.LBB9_847:
	s_andn2_b64 vcc, exec, s[0:1]
	s_cbranch_vccnz .LBB9_850
; %bb.848:
	s_waitcnt lgkmcnt(0)
	v_mul_hi_u32 v0, s37, v9
	v_add_u32_e32 v0, v9, v0
	v_lshrrev_b32_e32 v1, s38, v0
	v_mul_lo_u32 v0, v1, s36
	v_sub_u32_e32 v2, v9, v0
	v_mul_lo_u32 v0, v2, s29
	s_andn2_b64 vcc, exec, s[46:47]
	v_mul_lo_u32 v2, v2, s28
	s_cbranch_vccnz .LBB9_850
; %bb.849:
	v_mul_hi_u32 v3, s44, v1
	v_add_u32_e32 v3, v1, v3
	v_lshrrev_b32_e32 v3, s45, v3
	v_mul_lo_u32 v3, v3, s39
	v_sub_u32_e32 v1, v1, v3
	v_mad_u64_u32 v[2:3], s[0:1], v1, s30, v[2:3]
	v_mad_u64_u32 v[0:1], s[0:1], v1, s31, v[0:1]
.LBB9_850:
	s_waitcnt lgkmcnt(0)
	v_mov_b32_e32 v1, s27
	v_add_co_u32_e32 v0, vcc, s26, v0
	v_addc_co_u32_e32 v1, vcc, 0, v1, vcc
	v_cmp_gt_i16_e32 vcc, 11, v6
	s_cbranch_vccnz .LBB9_857
; %bb.851:
	v_cmp_lt_i16_e32 vcc, 25, v6
	s_mov_b64 s[2:3], 0
	s_cbranch_vccz .LBB9_858
; %bb.852:
	v_cmp_lt_i16_e32 vcc, 28, v6
	s_cbranch_vccz .LBB9_859
; %bb.853:
	v_cmp_lt_i16_e32 vcc, 43, v6
	;; [unrolled: 3-line block ×3, first 2 shown]
	s_cbranch_vccz .LBB9_863
; %bb.855:
	v_cmp_eq_u16_e32 vcc, 46, v6
	s_mov_b64 s[10:11], 0
	s_cbranch_vccz .LBB9_866
; %bb.856:
	global_load_dword v3, v[0:1], off
	s_mov_b64 s[0:1], 0
	s_mov_b64 s[8:9], -1
	s_waitcnt vmcnt(0)
	v_lshlrev_b32_e32 v3, 16, v3
	v_cvt_f64_f32_e32 v[4:5], v3
	s_branch .LBB9_867
.LBB9_857:
	s_mov_b64 s[12:13], -1
	s_mov_b64 s[8:9], 0
	s_mov_b64 s[2:3], 0
	;; [unrolled: 1-line block ×3, first 2 shown]
                                        ; implicit-def: $vgpr4_vgpr5
	s_branch .LBB9_930
.LBB9_858:
	s_mov_b64 s[10:11], -1
	s_mov_b64 s[8:9], 0
	s_mov_b64 s[0:1], s[66:67]
                                        ; implicit-def: $vgpr4_vgpr5
	s_branch .LBB9_896
.LBB9_859:
	s_mov_b64 s[10:11], -1
	s_mov_b64 s[8:9], 0
	s_mov_b64 s[0:1], s[66:67]
                                        ; implicit-def: $vgpr4_vgpr5
	s_branch .LBB9_877
.LBB9_860:
	s_mov_b64 s[10:11], -1
	s_mov_b64 s[8:9], 0
	s_mov_b64 s[0:1], s[66:67]
                                        ; implicit-def: $vgpr4_vgpr5
	s_branch .LBB9_872
.LBB9_861:
	s_or_saveexec_b64 s[12:13], s[12:13]
                                        ; implicit-def: $sgpr14
	s_xor_b64 exec, exec, s[12:13]
	s_cbranch_execz .LBB9_740
.LBB9_862:
	s_mov_b32 s14, 0x46000000
	v_add_f32_e64 v3, |v2|, s14
	v_and_b32_e32 v3, 0xff, v3
	v_cmp_ne_u32_e32 vcc, 0, v3
	s_andn2_b64 s[10:11], s[10:11], exec
	s_and_b64 s[16:17], vcc, exec
	s_mov_b32 s14, 0
	s_or_b64 s[10:11], s[10:11], s[16:17]
	s_or_b64 exec, exec, s[12:13]
	v_mov_b32_e32 v7, s14
	s_and_saveexec_b64 s[12:13], s[10:11]
	s_cbranch_execnz .LBB9_741
	s_branch .LBB9_742
.LBB9_863:
	s_mov_b64 s[10:11], -1
	s_mov_b64 s[8:9], 0
	s_mov_b64 s[0:1], s[66:67]
                                        ; implicit-def: $vgpr4_vgpr5
	s_branch .LBB9_867
.LBB9_864:
	s_or_saveexec_b64 s[12:13], s[12:13]
                                        ; implicit-def: $sgpr14
	s_xor_b64 exec, exec, s[12:13]
	s_cbranch_execz .LBB9_753
.LBB9_865:
	s_mov_b32 s14, 0x42800000
	v_add_f32_e64 v3, |v2|, s14
	v_and_b32_e32 v3, 0xff, v3
	v_cmp_ne_u32_e32 vcc, 0, v3
	s_andn2_b64 s[10:11], s[10:11], exec
	s_and_b64 s[16:17], vcc, exec
	s_mov_b32 s14, 0
	s_or_b64 s[10:11], s[10:11], s[16:17]
	s_or_b64 exec, exec, s[12:13]
	v_mov_b32_e32 v7, s14
	s_and_saveexec_b64 s[12:13], s[10:11]
	s_cbranch_execnz .LBB9_754
	s_branch .LBB9_755
.LBB9_866:
	s_mov_b64 s[0:1], -1
                                        ; implicit-def: $vgpr4_vgpr5
	s_mov_b64 s[8:9], 0
.LBB9_867:
	s_and_b64 vcc, exec, s[10:11]
	s_cbranch_vccz .LBB9_871
; %bb.868:
	v_cmp_eq_u16_e32 vcc, 44, v6
	s_cbranch_vccz .LBB9_870
; %bb.869:
	global_load_ubyte v3, v[0:1], off
	s_movk_i32 s8, 0xff
	v_bfrev_b32_e32 v7, 4
	v_mov_b32_e32 v9, 0x7ff80000
	v_bfrev_b32_e32 v10, 28
	s_mov_b64 s[0:1], 0
	s_waitcnt vmcnt(0)
	v_lshlrev_b32_e32 v4, 23, v3
	v_cvt_f64_f32_e32 v[4:5], v4
	v_cmp_ne_u32_e32 vcc, s8, v3
	v_cndmask_b32_e32 v4, v7, v4, vcc
	v_cndmask_b32_e32 v5, v9, v5, vcc
	v_cmp_ne_u32_e32 vcc, 0, v3
	v_cndmask_b32_e32 v5, v10, v5, vcc
	v_cndmask_b32_e32 v4, 0, v4, vcc
	s_mov_b64 s[8:9], -1
	s_branch .LBB9_871
.LBB9_870:
	s_mov_b64 s[0:1], -1
                                        ; implicit-def: $vgpr4_vgpr5
.LBB9_871:
	s_mov_b64 s[10:11], 0
.LBB9_872:
	s_and_b64 vcc, exec, s[10:11]
	s_cbranch_vccz .LBB9_876
; %bb.873:
	v_cmp_eq_u16_e32 vcc, 29, v6
	s_cbranch_vccz .LBB9_875
; %bb.874:
	global_load_dwordx2 v[4:5], v[0:1], off
	s_mov_b64 s[0:1], 0
	s_mov_b64 s[8:9], -1
	s_mov_b64 s[10:11], 0
	s_waitcnt vmcnt(0)
	v_cvt_f64_u32_e32 v[10:11], v5
	v_cvt_f64_u32_e32 v[4:5], v4
	v_ldexp_f64 v[10:11], v[10:11], 32
	v_add_f64 v[4:5], v[10:11], v[4:5]
	s_branch .LBB9_877
.LBB9_875:
	s_mov_b64 s[0:1], -1
                                        ; implicit-def: $vgpr4_vgpr5
.LBB9_876:
	s_mov_b64 s[10:11], 0
.LBB9_877:
	s_and_b64 vcc, exec, s[10:11]
	s_cbranch_vccz .LBB9_895
; %bb.878:
	v_cmp_gt_i16_e32 vcc, 27, v6
	s_cbranch_vccnz .LBB9_881
; %bb.879:
	v_cmp_lt_i16_e32 vcc, 27, v6
	s_cbranch_vccz .LBB9_882
; %bb.880:
	global_load_dword v3, v[0:1], off
	s_mov_b64 s[8:9], 0
	s_waitcnt vmcnt(0)
	v_cvt_f64_u32_e32 v[4:5], v3
	s_branch .LBB9_883
.LBB9_881:
	s_mov_b64 s[8:9], -1
                                        ; implicit-def: $vgpr4_vgpr5
	s_branch .LBB9_886
.LBB9_882:
	s_mov_b64 s[8:9], -1
                                        ; implicit-def: $vgpr4_vgpr5
.LBB9_883:
	s_andn2_b64 vcc, exec, s[8:9]
	s_cbranch_vccnz .LBB9_885
; %bb.884:
	global_load_ushort v3, v[0:1], off
	s_waitcnt vmcnt(0)
	v_cvt_f64_u32_e32 v[4:5], v3
.LBB9_885:
	s_mov_b64 s[8:9], 0
.LBB9_886:
	s_andn2_b64 vcc, exec, s[8:9]
	s_cbranch_vccnz .LBB9_894
; %bb.887:
	global_load_ubyte v3, v[0:1], off
	s_movk_i32 s8, 0x7f
                                        ; implicit-def: $sgpr10_sgpr11
	s_waitcnt vmcnt(0)
	v_cmp_lt_i16_e32 vcc, s8, v3
	s_mov_b64 s[8:9], 0
	s_and_saveexec_b64 s[12:13], vcc
	s_xor_b64 s[12:13], exec, s[12:13]
	s_cbranch_execz .LBB9_908
; %bb.888:
	s_movk_i32 s8, 0x80
	v_cmp_eq_u16_e32 vcc, s8, v3
	s_mov_b64 s[14:15], -1
                                        ; implicit-def: $sgpr10_sgpr11
	s_and_saveexec_b64 s[8:9], vcc
; %bb.889:
	s_mov_b32 s11, 0x7ff80000
	s_brev_b32 s10, 4
	s_xor_b64 s[14:15], exec, -1
; %bb.890:
	s_or_b64 exec, exec, s[8:9]
	s_and_b64 s[8:9], s[14:15], exec
	s_or_saveexec_b64 s[12:13], s[12:13]
	v_pk_mov_b32 v[4:5], s[10:11], s[10:11] op_sel:[0,1]
	s_xor_b64 exec, exec, s[12:13]
	s_cbranch_execnz .LBB9_909
.LBB9_891:
	s_or_b64 exec, exec, s[12:13]
	s_and_saveexec_b64 s[10:11], s[8:9]
	s_cbranch_execz .LBB9_893
.LBB9_892:
	v_lshlrev_b32_e32 v4, 24, v3
	v_and_b32_e32 v3, 0xffff, v3
	v_and_b32_e32 v5, 7, v3
	v_ffbh_u32_e32 v9, v5
	v_min_u32_e32 v9, 32, v9
	v_subrev_u32_e32 v10, 28, v9
	v_bfe_u32 v7, v3, 3, 4
	v_lshlrev_b32_e32 v3, v10, v3
	v_sub_u32_e32 v9, 29, v9
	v_and_b32_e32 v3, 7, v3
	v_cmp_eq_u32_e32 vcc, 0, v7
	v_cndmask_b32_e32 v7, v7, v9, vcc
	v_cndmask_b32_e32 v3, v5, v3, vcc
	v_mov_b32_e32 v5, 0x3b800000
	v_lshlrev_b32_e32 v3, 20, v3
	v_and_b32_e32 v4, 0x80000000, v4
	v_lshl_add_u32 v5, v7, 23, v5
	v_or3_b32 v3, v4, v5, v3
	v_cvt_f64_f32_e32 v[4:5], v3
.LBB9_893:
	s_or_b64 exec, exec, s[10:11]
.LBB9_894:
	s_mov_b64 s[8:9], -1
.LBB9_895:
	s_mov_b64 s[10:11], 0
.LBB9_896:
	s_and_b64 vcc, exec, s[10:11]
	s_cbranch_vccz .LBB9_929
; %bb.897:
	v_cmp_lt_i16_e32 vcc, 22, v6
	s_cbranch_vccz .LBB9_907
; %bb.898:
	v_cmp_gt_i16_e32 vcc, 24, v6
	s_cbranch_vccnz .LBB9_910
; %bb.899:
	v_cmp_lt_i16_e32 vcc, 24, v6
	s_cbranch_vccz .LBB9_911
; %bb.900:
	global_load_ubyte v3, v[0:1], off
	s_movk_i32 s2, 0x7f
                                        ; implicit-def: $sgpr8_sgpr9
	s_waitcnt vmcnt(0)
	v_cmp_lt_i16_e32 vcc, s2, v3
	s_mov_b64 s[2:3], 0
	s_and_saveexec_b64 s[10:11], vcc
	s_xor_b64 s[10:11], exec, s[10:11]
	s_cbranch_execz .LBB9_923
; %bb.901:
	s_movk_i32 s2, 0x80
	v_cmp_eq_u16_e32 vcc, s2, v3
	s_mov_b64 s[12:13], -1
                                        ; implicit-def: $sgpr8_sgpr9
	s_and_saveexec_b64 s[2:3], vcc
; %bb.902:
	s_mov_b32 s9, 0x7ff80000
	s_brev_b32 s8, 4
	s_xor_b64 s[12:13], exec, -1
; %bb.903:
	s_or_b64 exec, exec, s[2:3]
	s_and_b64 s[2:3], s[12:13], exec
	s_or_saveexec_b64 s[10:11], s[10:11]
	v_pk_mov_b32 v[4:5], s[8:9], s[8:9] op_sel:[0,1]
	s_xor_b64 exec, exec, s[10:11]
	s_cbranch_execnz .LBB9_924
.LBB9_904:
	s_or_b64 exec, exec, s[10:11]
	s_and_saveexec_b64 s[8:9], s[2:3]
	s_cbranch_execz .LBB9_906
.LBB9_905:
	v_lshlrev_b32_e32 v4, 24, v3
	v_and_b32_e32 v3, 0xffff, v3
	v_and_b32_e32 v5, 3, v3
	v_ffbh_u32_e32 v9, v5
	v_min_u32_e32 v9, 32, v9
	v_subrev_u32_e32 v10, 29, v9
	v_bfe_u32 v7, v3, 2, 5
	v_lshlrev_b32_e32 v3, v10, v3
	v_sub_u32_e32 v9, 30, v9
	v_and_b32_e32 v3, 3, v3
	v_cmp_eq_u32_e32 vcc, 0, v7
	v_cndmask_b32_e32 v7, v7, v9, vcc
	v_cndmask_b32_e32 v3, v5, v3, vcc
	v_mov_b32_e32 v5, 0x37800000
	v_lshlrev_b32_e32 v3, 21, v3
	v_and_b32_e32 v4, 0x80000000, v4
	v_lshl_add_u32 v5, v7, 23, v5
	v_or3_b32 v3, v4, v5, v3
	v_cvt_f64_f32_e32 v[4:5], v3
.LBB9_906:
	s_or_b64 exec, exec, s[8:9]
	s_mov_b64 s[2:3], 0
	s_branch .LBB9_912
.LBB9_907:
	s_mov_b64 s[2:3], -1
                                        ; implicit-def: $vgpr4_vgpr5
	s_branch .LBB9_918
.LBB9_908:
	s_or_saveexec_b64 s[12:13], s[12:13]
	v_pk_mov_b32 v[4:5], s[10:11], s[10:11] op_sel:[0,1]
	s_xor_b64 exec, exec, s[12:13]
	s_cbranch_execz .LBB9_891
.LBB9_909:
	v_cmp_ne_u16_e32 vcc, 0, v3
	s_andn2_b64 s[8:9], s[8:9], exec
	s_and_b64 s[10:11], vcc, exec
	v_pk_mov_b32 v[4:5], 0, 0
	s_or_b64 s[8:9], s[8:9], s[10:11]
	s_or_b64 exec, exec, s[12:13]
	s_and_saveexec_b64 s[10:11], s[8:9]
	s_cbranch_execnz .LBB9_892
	s_branch .LBB9_893
.LBB9_910:
	s_mov_b64 s[2:3], -1
                                        ; implicit-def: $vgpr4_vgpr5
	s_branch .LBB9_915
.LBB9_911:
	s_mov_b64 s[2:3], -1
                                        ; implicit-def: $vgpr4_vgpr5
.LBB9_912:
	s_and_b64 vcc, exec, s[2:3]
	s_cbranch_vccz .LBB9_914
; %bb.913:
	global_load_ubyte v3, v[0:1], off
	s_mov_b32 s2, 0x7f800000
	s_waitcnt vmcnt(0)
	v_lshlrev_b32_e32 v3, 24, v3
	v_and_b32_e32 v4, 0x7f000000, v3
	v_ffbh_u32_e32 v5, v4
	v_min_u32_e32 v5, 32, v5
	v_sub_u32_e64 v5, v5, 4 clamp
	v_lshlrev_b32_e32 v9, v5, v4
	v_lshlrev_b32_e32 v5, 23, v5
	v_lshrrev_b32_e32 v9, 4, v9
	v_add_u32_e32 v7, 0x1000000, v4
	v_sub_u32_e32 v5, v9, v5
	v_ashrrev_i32_e32 v7, 8, v7
	v_add_u32_e32 v5, 0x3c000000, v5
	v_and_or_b32 v5, v7, s2, v5
	v_cmp_ne_u32_e32 vcc, 0, v4
	v_cndmask_b32_e32 v4, 0, v5, vcc
	s_brev_b32 s2, 1
	v_and_or_b32 v3, v3, s2, v4
	v_cvt_f64_f32_e32 v[4:5], v3
.LBB9_914:
	s_mov_b64 s[2:3], 0
.LBB9_915:
	s_andn2_b64 vcc, exec, s[2:3]
	s_cbranch_vccnz .LBB9_917
; %bb.916:
	global_load_ubyte v3, v[0:1], off
	s_movk_i32 s2, 0x7f00
	s_brev_b32 s3, 16
	s_waitcnt vmcnt(0)
	v_lshlrev_b16_e32 v4, 8, v3
	v_lshlrev_b32_e32 v3, 25, v3
	v_lshrrev_b32_e32 v5, 4, v3
	v_and_or_b32 v7, v4, s2, 0.5
	v_or_b32_e32 v5, 0x70000000, v5
	v_add_f32_e32 v7, -0.5, v7
	v_mul_f32_e32 v5, 0x7800000, v5
	v_cmp_gt_u32_e32 vcc, s3, v3
	v_bfe_i32 v4, v4, 0, 16
	v_cndmask_b32_e32 v3, v5, v7, vcc
	s_brev_b32 s2, 1
	v_and_or_b32 v3, v4, s2, v3
	v_cvt_f64_f32_e32 v[4:5], v3
.LBB9_917:
	s_mov_b64 s[2:3], 0
	s_mov_b64 s[8:9], -1
.LBB9_918:
	s_andn2_b64 vcc, exec, s[2:3]
	s_mov_b64 s[2:3], 0
	s_cbranch_vccnz .LBB9_929
; %bb.919:
	v_cmp_lt_i16_e32 vcc, 14, v6
	s_cbranch_vccz .LBB9_922
; %bb.920:
	v_cmp_eq_u16_e32 vcc, 15, v6
	s_cbranch_vccz .LBB9_925
; %bb.921:
	global_load_ushort v3, v[0:1], off
	s_mov_b64 s[0:1], 0
	s_mov_b64 s[8:9], -1
	s_waitcnt vmcnt(0)
	v_lshlrev_b32_e32 v3, 16, v3
	v_cvt_f64_f32_e32 v[4:5], v3
	s_branch .LBB9_926
.LBB9_922:
	s_mov_b64 s[10:11], -1
                                        ; implicit-def: $vgpr4_vgpr5
	s_branch .LBB9_927
.LBB9_923:
	s_or_saveexec_b64 s[10:11], s[10:11]
	v_pk_mov_b32 v[4:5], s[8:9], s[8:9] op_sel:[0,1]
	s_xor_b64 exec, exec, s[10:11]
	s_cbranch_execz .LBB9_904
.LBB9_924:
	v_cmp_ne_u16_e32 vcc, 0, v3
	s_andn2_b64 s[2:3], s[2:3], exec
	s_and_b64 s[8:9], vcc, exec
	v_pk_mov_b32 v[4:5], 0, 0
	s_or_b64 s[2:3], s[2:3], s[8:9]
	s_or_b64 exec, exec, s[10:11]
	s_and_saveexec_b64 s[8:9], s[2:3]
	s_cbranch_execnz .LBB9_905
	s_branch .LBB9_906
.LBB9_925:
	s_mov_b64 s[0:1], -1
                                        ; implicit-def: $vgpr4_vgpr5
.LBB9_926:
	s_mov_b64 s[10:11], 0
.LBB9_927:
	s_and_b64 vcc, exec, s[10:11]
	s_cbranch_vccz .LBB9_929
; %bb.928:
	v_cmp_ne_u16_e32 vcc, 11, v6
	s_andn2_b64 s[0:1], s[0:1], exec
	s_and_b64 s[10:11], vcc, exec
	s_mov_b64 s[2:3], -1
	s_or_b64 s[0:1], s[0:1], s[10:11]
                                        ; implicit-def: $vgpr4_vgpr5
.LBB9_929:
	s_mov_b64 s[12:13], 0
.LBB9_930:
	s_and_b64 s[10:11], s[8:9], exec
	s_and_b64 s[8:9], s[12:13], exec
	s_andn2_b64 s[12:13], s[66:67], exec
	s_and_b64 s[0:1], s[0:1], exec
	s_and_b64 s[2:3], s[2:3], exec
	s_or_b64 s[12:13], s[12:13], s[0:1]
.LBB9_931:
	s_or_b64 exec, exec, s[70:71]
	s_and_b64 s[0:1], s[2:3], exec
	s_andn2_b64 s[2:3], s[66:67], exec
	s_and_b64 s[12:13], s[12:13], exec
	s_and_b64 s[10:11], s[10:11], exec
	;; [unrolled: 1-line block ×3, first 2 shown]
	s_or_b64 s[66:67], s[2:3], s[12:13]
.LBB9_932:
	s_or_b64 exec, exec, s[64:65]
	s_andn2_b64 s[2:3], s[60:61], exec
	s_and_b64 s[12:13], s[68:69], exec
	s_or_b64 s[60:61], s[2:3], s[12:13]
	s_and_b64 s[2:3], s[0:1], exec
	s_andn2_b64 s[0:1], s[58:59], exec
	s_and_b64 s[12:13], s[66:67], exec
	s_and_b64 s[10:11], s[10:11], exec
	;; [unrolled: 1-line block ×3, first 2 shown]
	s_or_b64 s[58:59], s[0:1], s[12:13]
.LBB9_933:
	s_or_b64 exec, exec, s[62:63]
	s_andn2_b64 s[0:1], s[52:53], exec
	s_and_b64 s[12:13], s[60:61], exec
	s_or_b64 s[52:53], s[0:1], s[12:13]
	s_and_b64 s[0:1], s[10:11], exec
	s_and_b64 s[10:11], s[8:9], exec
	;; [unrolled: 1-line block ×3, first 2 shown]
	s_andn2_b64 s[2:3], s[54:55], exec
	s_and_b64 s[8:9], s[58:59], exec
	s_or_b64 s[54:55], s[2:3], s[8:9]
	s_or_b64 exec, exec, s[56:57]
	s_mov_b64 s[2:3], 0
	s_and_saveexec_b64 s[8:9], s[54:55]
	s_cbranch_execz .LBB9_280
.LBB9_934:
	s_mov_b64 s[2:3], exec
	s_andn2_b64 s[60:61], s[60:61], exec
	s_trap 2
                                        ; implicit-def: $vgpr4_vgpr5
	s_or_b64 exec, exec, s[8:9]
	s_and_saveexec_b64 s[8:9], s[60:61]
	s_xor_b64 s[8:9], exec, s[8:9]
	s_cbranch_execnz .LBB9_281
.LBB9_935:
	s_or_b64 exec, exec, s[8:9]
	s_and_saveexec_b64 s[8:9], s[10:11]
	s_cbranch_execz .LBB9_981
.LBB9_936:
	v_cmp_gt_i16_e32 vcc, 5, v6
	s_cbranch_vccnz .LBB9_941
; %bb.937:
	v_cmp_gt_i16_e32 vcc, 8, v6
	s_cbranch_vccnz .LBB9_942
; %bb.938:
	v_cmp_gt_i16_e32 vcc, 9, v6
	s_cbranch_vccnz .LBB9_943
; %bb.939:
	v_cmp_lt_i16_e32 vcc, 9, v6
	s_cbranch_vccz .LBB9_944
; %bb.940:
	global_load_dwordx2 v[4:5], v[0:1], off
	s_mov_b64 s[10:11], 0
	s_branch .LBB9_945
.LBB9_941:
                                        ; implicit-def: $vgpr4_vgpr5
	s_branch .LBB9_962
.LBB9_942:
                                        ; implicit-def: $vgpr4_vgpr5
	s_branch .LBB9_951
.LBB9_943:
	s_mov_b64 s[10:11], -1
                                        ; implicit-def: $vgpr4_vgpr5
	s_branch .LBB9_948
.LBB9_944:
	s_mov_b64 s[10:11], -1
                                        ; implicit-def: $vgpr4_vgpr5
.LBB9_945:
	s_andn2_b64 vcc, exec, s[10:11]
	s_cbranch_vccnz .LBB9_947
; %bb.946:
	global_load_dword v3, v[0:1], off
	s_waitcnt vmcnt(0)
	v_cvt_f64_f32_e32 v[4:5], v3
.LBB9_947:
	s_mov_b64 s[10:11], 0
.LBB9_948:
	s_andn2_b64 vcc, exec, s[10:11]
	s_cbranch_vccnz .LBB9_950
; %bb.949:
	global_load_dword v3, v[0:1], off
	s_waitcnt vmcnt(0)
	v_cvt_f32_f16_e32 v3, v3
	v_cvt_f64_f32_e32 v[4:5], v3
.LBB9_950:
	s_cbranch_execnz .LBB9_961
.LBB9_951:
	v_cmp_gt_i16_e32 vcc, 6, v6
	s_cbranch_vccnz .LBB9_954
; %bb.952:
	v_cmp_lt_i16_e32 vcc, 6, v6
	s_cbranch_vccz .LBB9_955
; %bb.953:
	global_load_dwordx2 v[4:5], v[0:1], off
	s_mov_b64 s[10:11], 0
	s_branch .LBB9_956
.LBB9_954:
	s_mov_b64 s[10:11], -1
                                        ; implicit-def: $vgpr4_vgpr5
	s_branch .LBB9_959
.LBB9_955:
	s_mov_b64 s[10:11], -1
                                        ; implicit-def: $vgpr4_vgpr5
.LBB9_956:
	s_andn2_b64 vcc, exec, s[10:11]
	s_cbranch_vccnz .LBB9_958
; %bb.957:
	global_load_dword v3, v[0:1], off
	s_waitcnt vmcnt(0)
	v_cvt_f64_f32_e32 v[4:5], v3
.LBB9_958:
	s_mov_b64 s[10:11], 0
.LBB9_959:
	s_andn2_b64 vcc, exec, s[10:11]
	s_cbranch_vccnz .LBB9_961
; %bb.960:
	global_load_ushort v3, v[0:1], off
	s_waitcnt vmcnt(0)
	v_cvt_f32_f16_e32 v3, v3
	v_cvt_f64_f32_e32 v[4:5], v3
.LBB9_961:
	s_cbranch_execnz .LBB9_980
.LBB9_962:
	v_cmp_gt_i16_e32 vcc, 2, v6
	s_cbranch_vccnz .LBB9_966
; %bb.963:
	v_cmp_gt_i16_e32 vcc, 3, v6
	s_cbranch_vccnz .LBB9_967
; %bb.964:
	v_cmp_lt_i16_e32 vcc, 3, v6
	s_cbranch_vccz .LBB9_968
; %bb.965:
	global_load_dwordx2 v[4:5], v[0:1], off
	s_mov_b64 s[10:11], 0
	s_waitcnt vmcnt(0)
	v_cvt_f64_i32_e32 v[10:11], v5
	v_cvt_f64_u32_e32 v[4:5], v4
	v_ldexp_f64 v[10:11], v[10:11], 32
	v_add_f64 v[4:5], v[10:11], v[4:5]
	s_branch .LBB9_969
.LBB9_966:
                                        ; implicit-def: $vgpr4_vgpr5
	s_branch .LBB9_975
.LBB9_967:
	s_mov_b64 s[10:11], -1
                                        ; implicit-def: $vgpr4_vgpr5
	s_branch .LBB9_972
.LBB9_968:
	s_mov_b64 s[10:11], -1
                                        ; implicit-def: $vgpr4_vgpr5
.LBB9_969:
	s_andn2_b64 vcc, exec, s[10:11]
	s_cbranch_vccnz .LBB9_971
; %bb.970:
	global_load_dword v3, v[0:1], off
	s_waitcnt vmcnt(0)
	v_cvt_f64_i32_e32 v[4:5], v3
.LBB9_971:
	s_mov_b64 s[10:11], 0
.LBB9_972:
	s_andn2_b64 vcc, exec, s[10:11]
	s_cbranch_vccnz .LBB9_974
; %bb.973:
	global_load_sshort v3, v[0:1], off
	s_waitcnt vmcnt(0)
	v_cvt_f64_i32_e32 v[4:5], v3
.LBB9_974:
	s_cbranch_execnz .LBB9_980
.LBB9_975:
	v_cmp_lt_i16_e32 vcc, 0, v6
	s_cbranch_vccz .LBB9_977
; %bb.976:
	global_load_sbyte v3, v[0:1], off
	s_mov_b64 s[10:11], 0
	s_waitcnt vmcnt(0)
	v_cvt_f64_i32_e32 v[4:5], v3
	s_branch .LBB9_978
.LBB9_977:
	s_mov_b64 s[10:11], -1
                                        ; implicit-def: $vgpr4_vgpr5
.LBB9_978:
	s_andn2_b64 vcc, exec, s[10:11]
	s_cbranch_vccnz .LBB9_980
; %bb.979:
	global_load_ubyte v0, v[0:1], off
	s_waitcnt vmcnt(0)
	v_cvt_f64_u32_e32 v[4:5], v0
.LBB9_980:
	s_or_b64 s[0:1], s[0:1], exec
.LBB9_981:
	s_or_b64 exec, exec, s[8:9]
	s_mov_b64 s[12:13], 0
	s_mov_b64 s[10:11], 0
                                        ; implicit-def: $vgpr9
                                        ; implicit-def: $vgpr6_vgpr7
                                        ; implicit-def: $vgpr0_vgpr1
	s_and_saveexec_b64 s[8:9], s[0:1]
	s_cbranch_execz .LBB9_1060
; %bb.982:
	s_mov_b32 s0, 0
	s_mov_b32 s1, 0x40200000
	s_waitcnt vmcnt(0)
	v_cmp_le_f64_e64 s[0:1], |v[4:5]|, s[0:1]
                                        ; implicit-def: $vgpr0_vgpr1
	s_and_saveexec_b64 s[10:11], s[0:1]
	s_xor_b64 s[0:1], exec, s[10:11]
	s_cbranch_execz .LBB9_984
; %bb.983:
	s_mov_b32 s10, 0x2134d0ef
	v_fma_f64 v[0:1], |v[4:5]|, 0.5, -2.0
	v_mov_b32_e32 v6, 0x977da589
	v_mov_b32_e32 v7, 0x3c833362
	s_mov_b32 s11, 0xbc545cb7
	v_fmac_f64_e32 v[6:7], s[10:11], v[0:1]
	v_mov_b32_e32 v10, 0x2134d0ef
	v_mov_b32_e32 v11, 0x3c545cb7
	s_mov_b32 s10, 0x721ebbb4
	v_fmac_f64_e32 v[10:11], v[0:1], v[6:7]
	s_mov_b32 s11, 0xbcb184eb
	v_add_f64 v[10:11], v[10:11], s[10:11]
	s_mov_b32 s10, 0x93f65eba
	v_fma_f64 v[6:7], v[0:1], v[10:11], -v[6:7]
	s_mov_b32 s11, 0x3cdee6d8
	v_add_f64 v[6:7], v[6:7], s[10:11]
	s_mov_b32 s10, 0xc297fbeb
	v_fma_f64 v[10:11], v[0:1], v[6:7], -v[10:11]
	;; [unrolled: 4-line block ×27, first 2 shown]
	s_mov_b32 s11, 0x3fe5a84e
	v_add_f64 v[0:1], v[0:1], s[10:11]
	s_mov_b32 s10, 0x652b82fe
	s_mov_b32 s11, 0x3ff71547
	v_mul_f64 v[10:11], |v[4:5]|, s[10:11]
	s_mov_b32 s10, 0xfefa39ef
	v_rndne_f64_e32 v[10:11], v[10:11]
	s_mov_b32 s11, 0xbfe62e42
	v_fma_f64 v[12:13], v[10:11], s[10:11], |v[4:5]|
	s_mov_b32 s10, 0x3b39803f
	s_mov_b32 s11, 0xbc7abc9e
	v_fmac_f64_e32 v[12:13], s[10:11], v[10:11]
	s_mov_b32 s10, 0x6a5dcb37
	v_mov_b32_e32 v14, 0xfca7ab0c
	v_mov_b32_e32 v15, 0x3e928af3
	s_mov_b32 s11, 0x3e5ade15
	v_fmac_f64_e32 v[14:15], s[10:11], v[12:13]
	v_mov_b32_e32 v16, 0x623fde64
	v_mov_b32_e32 v17, 0x3ec71dee
	v_fmac_f64_e32 v[16:17], v[12:13], v[14:15]
	v_mov_b32_e32 v14, 0x7c89e6b0
	v_mov_b32_e32 v15, 0x3efa0199
	;; [unrolled: 3-line block ×8, first 2 shown]
	v_fmac_f64_e32 v[14:15], v[12:13], v[16:17]
	v_fma_f64 v[14:15], v[12:13], v[14:15], 1.0
	s_mov_b32 s10, 0
	v_fma_f64 v[12:13], v[12:13], v[14:15], 1.0
	v_cvt_i32_f64_e32 v3, v[10:11]
	s_mov_b32 s11, 0x40900000
	v_ldexp_f64 v[10:11], v[12:13], v3
	v_mov_b32_e32 v3, 0x7ff00000
	v_cmp_ngt_f64_e64 vcc, |v[4:5]|, s[10:11]
	v_add_f64 v[0:1], v[0:1], -v[6:7]
	v_cndmask_b32_e32 v5, v3, v11, vcc
	v_cndmask_b32_e32 v4, 0, v10, vcc
	v_mul_f64 v[0:1], v[0:1], 0.5
	v_mul_f64 v[0:1], v[4:5], v[0:1]
                                        ; implicit-def: $vgpr4_vgpr5
.LBB9_984:
	s_andn2_saveexec_b64 s[0:1], s[0:1]
	s_cbranch_execz .LBB9_986
; %bb.985:
	s_mov_b32 s10, 0
	v_and_b32_e32 v1, 0x7fffffff, v5
	v_mov_b32_e32 v0, v4
	s_mov_b32 s11, 0x40400000
	v_div_scale_f64 v[6:7], s[12:13], v[0:1], v[0:1], s[10:11]
	v_rcp_f64_e32 v[10:11], v[6:7]
	v_div_scale_f64 v[0:1], vcc, s[10:11], v[0:1], s[10:11]
	v_mov_b32_e32 v14, 0xfca7ab0c
	v_fma_f64 v[12:13], -v[6:7], v[10:11], 1.0
	v_fmac_f64_e32 v[10:11], v[10:11], v[12:13]
	v_fma_f64 v[12:13], -v[6:7], v[10:11], 1.0
	v_fmac_f64_e32 v[10:11], v[10:11], v[12:13]
	v_mul_f64 v[12:13], v[0:1], v[10:11]
	v_fma_f64 v[0:1], -v[6:7], v[12:13], v[0:1]
	v_div_fmas_f64 v[0:1], v[0:1], v[10:11], v[12:13]
	v_div_fixup_f64 v[0:1], v[0:1], |v[4:5]|, s[10:11]
	s_mov_b32 s10, 0x54ca8b19
	v_add_f64 v[0:1], v[0:1], -2.0
	v_mov_b32_e32 v6, 0x66119130
	v_mov_b32_e32 v7, 0xbc5646da
	s_mov_b32 s11, 0xbc60adb7
	v_fmac_f64_e32 v[6:7], s[10:11], v[0:1]
	v_mov_b32_e32 v10, 0x54ca8b19
	v_mov_b32_e32 v11, 0x3c60adb7
	s_mov_b32 s10, 0x12d98421
	v_fmac_f64_e32 v[10:11], v[0:1], v[6:7]
	s_mov_b32 s11, 0x3c89be18
	v_add_f64 v[10:11], v[10:11], s[10:11]
	s_mov_b32 s10, 0x76041cd
	v_fma_f64 v[6:7], v[0:1], v[10:11], -v[6:7]
	s_mov_b32 s11, 0x3c83f3dd
	v_add_f64 v[6:7], v[6:7], s[10:11]
	s_mov_b32 s10, 0xabd21fe4
	v_fma_f64 v[10:11], v[0:1], v[6:7], -v[10:11]
	;; [unrolled: 4-line block ×22, first 2 shown]
	s_mov_b32 s11, 0x3fe9be62
	v_add_f64 v[0:1], v[0:1], s[10:11]
	s_mov_b32 s10, 0x652b82fe
	s_mov_b32 s11, 0x3ff71547
	v_mul_f64 v[6:7], |v[4:5]|, s[10:11]
	s_mov_b32 s10, 0xfefa39ef
	v_rndne_f64_e32 v[6:7], v[6:7]
	s_mov_b32 s11, 0xbfe62e42
	v_fma_f64 v[12:13], v[6:7], s[10:11], |v[4:5]|
	s_mov_b32 s10, 0x3b39803f
	s_mov_b32 s11, 0xbc7abc9e
	v_fmac_f64_e32 v[12:13], s[10:11], v[6:7]
	s_mov_b32 s10, 0x6a5dcb37
	v_mov_b32_e32 v15, 0x3e928af3
	s_mov_b32 s11, 0x3e5ade15
	v_fmac_f64_e32 v[14:15], s[10:11], v[12:13]
	v_mov_b32_e32 v16, 0x623fde64
	v_mov_b32_e32 v17, 0x3ec71dee
	v_fmac_f64_e32 v[16:17], v[12:13], v[14:15]
	v_mov_b32_e32 v14, 0x7c89e6b0
	v_mov_b32_e32 v15, 0x3efa0199
	;; [unrolled: 3-line block ×8, first 2 shown]
	v_fmac_f64_e32 v[14:15], v[12:13], v[16:17]
	s_mov_b32 s10, 0
	v_fma_f64 v[14:15], v[12:13], v[14:15], 1.0
	s_mov_b32 s11, 0x40900000
	v_fma_f64 v[12:13], v[12:13], v[14:15], 1.0
	v_cvt_i32_f64_e32 v3, v[6:7]
	v_cmp_ngt_f64_e64 vcc, |v[4:5]|, s[10:11]
	s_mov_b32 s10, 0
	v_ldexp_f64 v[6:7], v[12:13], v3
	v_mov_b32_e32 v3, 0x7ff00000
	s_brev_b32 s11, 8
	v_cndmask_b32_e32 v7, v3, v7, vcc
	v_cndmask_b32_e32 v6, 0, v6, vcc
	v_cmp_lt_f64_e64 vcc, |v[4:5]|, s[10:11]
	v_cndmask_b32_e64 v3, 0, 1, vcc
	v_lshlrev_b32_e32 v3, 8, v3
	v_ldexp_f64 v[4:5], |v[4:5]|, v3
	v_rsq_f64_e32 v[12:13], v[4:5]
	v_add_f64 v[0:1], v[0:1], -v[10:11]
	v_mul_f64 v[0:1], v[0:1], 0.5
	v_mul_f64 v[0:1], v[6:7], v[0:1]
	v_mul_f64 v[6:7], v[4:5], v[12:13]
	v_mul_f64 v[10:11], v[12:13], 0.5
	v_fma_f64 v[12:13], -v[10:11], v[6:7], 0.5
	v_fmac_f64_e32 v[6:7], v[6:7], v[12:13]
	v_fma_f64 v[14:15], -v[6:7], v[6:7], v[4:5]
	v_fmac_f64_e32 v[10:11], v[10:11], v[12:13]
	v_fmac_f64_e32 v[6:7], v[14:15], v[10:11]
	v_fma_f64 v[12:13], -v[6:7], v[6:7], v[4:5]
	v_mov_b32_e32 v3, 0xffffff80
	v_fmac_f64_e32 v[6:7], v[12:13], v[10:11]
	v_cndmask_b32_e32 v3, 0, v3, vcc
	v_ldexp_f64 v[6:7], v[6:7], v3
	v_mov_b32_e32 v3, 0x260
	v_cmp_class_f64_e32 vcc, v[4:5], v3
	v_cndmask_b32_e32 v5, v7, v5, vcc
	v_cndmask_b32_e32 v4, v6, v4, vcc
	v_div_scale_f64 v[6:7], s[10:11], v[4:5], v[4:5], v[0:1]
	v_rcp_f64_e32 v[10:11], v[6:7]
	v_fma_f64 v[12:13], -v[6:7], v[10:11], 1.0
	v_fmac_f64_e32 v[10:11], v[10:11], v[12:13]
	v_fma_f64 v[12:13], -v[6:7], v[10:11], 1.0
	v_fmac_f64_e32 v[10:11], v[10:11], v[12:13]
	v_div_scale_f64 v[12:13], vcc, v[0:1], v[4:5], v[0:1]
	v_mul_f64 v[14:15], v[12:13], v[10:11]
	v_fma_f64 v[6:7], -v[6:7], v[14:15], v[12:13]
	s_nop 1
	v_div_fmas_f64 v[6:7], v[6:7], v[10:11], v[14:15]
	v_div_fixup_f64 v[0:1], v[6:7], v[4:5], v[0:1]
.LBB9_986:
	s_or_b64 exec, exec, s[0:1]
	s_waitcnt lgkmcnt(0)
	v_mov_b32_e32 v3, s25
	v_add_co_u32_e32 v6, vcc, s24, v2
	v_addc_co_u32_e32 v7, vcc, 0, v3, vcc
	v_and_b32_e32 v9, 0xff, v8
	v_cmp_gt_i16_e32 vcc, 11, v9
	s_cbranch_vccnz .LBB9_1063
; %bb.987:
	v_cmp_lt_i16_e32 vcc, 25, v9
	s_mov_b64 s[12:13], -1
	s_mov_b64 s[0:1], s[52:53]
	s_cbranch_vccz .LBB9_1020
; %bb.988:
	v_cmp_lt_i16_e32 vcc, 28, v9
	s_mov_b64 s[10:11], -1
	s_mov_b64 s[0:1], s[52:53]
	s_cbranch_vccz .LBB9_1004
; %bb.989:
	v_cmp_lt_i16_e32 vcc, 43, v9
	s_mov_b64 s[0:1], s[52:53]
	s_cbranch_vccz .LBB9_1000
; %bb.990:
	v_cmp_lt_i16_e32 vcc, 45, v9
	s_mov_b64 s[0:1], s[52:53]
	s_cbranch_vccz .LBB9_994
; %bb.991:
	v_cmp_eq_u16_e32 vcc, 46, v9
	s_mov_b64 s[0:1], -1
	s_cbranch_vccz .LBB9_993
; %bb.992:
	v_cvt_f32_f64_e32 v2, v[0:1]
	v_bfe_u32 v3, v2, 16, 1
	s_movk_i32 s0, 0x7fff
	v_add3_u32 v3, v2, v3, s0
	v_lshrrev_b32_e32 v3, 16, v3
	v_mov_b32_e32 v4, 0x7fc0
	v_cmp_o_f32_e32 vcc, v2, v2
	v_cndmask_b32_e32 v2, v4, v3, vcc
	global_store_dword v[6:7], v2, off
	s_mov_b64 s[0:1], 0
.LBB9_993:
	s_mov_b64 s[10:11], 0
.LBB9_994:
	s_and_b64 vcc, exec, s[10:11]
	s_cbranch_vccz .LBB9_999
; %bb.995:
	v_cmp_eq_u16_e32 vcc, 44, v9
	s_mov_b64 s[0:1], -1
	s_cbranch_vccz .LBB9_999
; %bb.996:
	v_cvt_f32_f64_e32 v2, v[0:1]
	v_bfe_u32 v3, v2, 23, 8
	s_movk_i32 s0, 0xff
	v_cmp_ne_u32_e32 vcc, s0, v3
	v_mov_b32_e32 v4, 0xff
	s_and_saveexec_b64 s[10:11], vcc
; %bb.997:
	s_mov_b32 s0, 0x3fffff
	v_lshrrev_b32_e32 v4, 23, v2
	v_and_b32_e32 v5, 0x400000, v2
	v_and_or_b32 v2, v2, s0, v3
	v_cmp_ne_u32_e32 vcc, 0, v5
	v_cmp_ne_u32_e64 s[0:1], 0, v2
	s_and_b64 s[0:1], vcc, s[0:1]
	v_cndmask_b32_e64 v2, 0, 1, s[0:1]
	v_add_u32_e32 v4, v4, v2
; %bb.998:
	s_or_b64 exec, exec, s[10:11]
	s_mov_b64 s[0:1], 0
	global_store_byte v[6:7], v4, off
.LBB9_999:
	s_mov_b64 s[10:11], 0
.LBB9_1000:
	s_and_b64 vcc, exec, s[10:11]
	s_cbranch_vccz .LBB9_1003
; %bb.1001:
	v_cmp_eq_u16_e32 vcc, 29, v9
	s_mov_b64 s[0:1], -1
	s_cbranch_vccz .LBB9_1003
; %bb.1002:
	v_trunc_f64_e32 v[2:3], v[0:1]
	s_movk_i32 s0, 0xffe0
	v_ldexp_f64 v[4:5], v[2:3], s0
	v_floor_f64_e32 v[4:5], v[4:5]
	v_fmac_f64_e32 v[2:3], 0xc1f00000, v[4:5]
	v_cvt_u32_f64_e32 v11, v[4:5]
	v_cvt_u32_f64_e32 v10, v[2:3]
	global_store_dwordx2 v[6:7], v[10:11], off
	s_mov_b64 s[0:1], 0
.LBB9_1003:
	s_mov_b64 s[10:11], 0
.LBB9_1004:
	s_and_b64 vcc, exec, s[10:11]
	s_cbranch_vccz .LBB9_1019
; %bb.1005:
	v_cmp_gt_i16_e32 vcc, 27, v9
	s_mov_b64 s[10:11], -1
	s_cbranch_vccnz .LBB9_1011
; %bb.1006:
	v_cmp_lt_i16_e32 vcc, 27, v9
	s_cbranch_vccz .LBB9_1008
; %bb.1007:
	v_cvt_u32_f64_e32 v2, v[0:1]
	s_mov_b64 s[10:11], 0
	global_store_dword v[6:7], v2, off
.LBB9_1008:
	s_andn2_b64 vcc, exec, s[10:11]
	s_cbranch_vccnz .LBB9_1010
; %bb.1009:
	v_cvt_u32_f64_e32 v2, v[0:1]
	global_store_short v[6:7], v2, off
.LBB9_1010:
	s_mov_b64 s[10:11], 0
.LBB9_1011:
	s_andn2_b64 vcc, exec, s[10:11]
	s_cbranch_vccnz .LBB9_1019
; %bb.1012:
	v_cvt_f32_f64_e32 v2, v[0:1]
	v_and_b32_e32 v3, 0x7fffffff, v2
	s_mov_b32 s10, 0x43800000
	v_cmp_gt_u32_e32 vcc, s10, v3
	v_mov_b32_e32 v4, 0x80
	s_and_saveexec_b64 s[10:11], vcc
	s_cbranch_execz .LBB9_1018
; %bb.1013:
	s_mov_b32 s12, 0x3bffffff
	v_cmp_lt_u32_e32 vcc, s12, v3
	s_mov_b64 s[12:13], 0
                                        ; implicit-def: $vgpr3
	s_and_saveexec_b64 s[14:15], vcc
	s_xor_b64 s[14:15], exec, s[14:15]
	s_cbranch_execz .LBB9_1176
; %bb.1014:
	v_bfe_u32 v3, v2, 20, 1
	s_mov_b32 s16, 0x487ffff
	v_add3_u32 v3, v2, v3, s16
	s_mov_b64 s[12:13], exec
	v_lshrrev_b32_e32 v3, 20, v3
	s_or_saveexec_b64 s[14:15], s[14:15]
                                        ; implicit-def: $sgpr16
	s_xor_b64 exec, exec, s[14:15]
	s_cbranch_execnz .LBB9_1177
.LBB9_1015:
	s_or_b64 exec, exec, s[14:15]
	v_mov_b32_e32 v4, s16
	s_and_saveexec_b64 s[14:15], s[12:13]
.LBB9_1016:
	v_lshrrev_b32_e32 v2, 24, v2
	s_movk_i32 s12, 0x80
	v_and_or_b32 v4, v2, s12, v3
.LBB9_1017:
	s_or_b64 exec, exec, s[14:15]
.LBB9_1018:
	s_or_b64 exec, exec, s[10:11]
	global_store_byte v[6:7], v4, off
.LBB9_1019:
	s_mov_b64 s[12:13], 0
.LBB9_1020:
	s_mov_b64 s[10:11], 0
	s_and_b64 vcc, exec, s[12:13]
	s_cbranch_vccz .LBB9_1064
; %bb.1021:
	v_cmp_lt_i16_e32 vcc, 22, v9
	s_mov_b64 s[12:13], -1
	s_cbranch_vccz .LBB9_1053
; %bb.1022:
	v_cmp_gt_i16_e32 vcc, 24, v9
	s_cbranch_vccnz .LBB9_1042
; %bb.1023:
	v_cmp_lt_i16_e32 vcc, 24, v9
	s_cbranch_vccz .LBB9_1031
; %bb.1024:
	v_cvt_f32_f64_e32 v2, v[0:1]
	v_and_b32_e32 v3, 0x7fffffff, v2
	s_mov_b32 s12, 0x47800000
	v_cmp_gt_u32_e32 vcc, s12, v3
	v_mov_b32_e32 v4, 0x80
	s_and_saveexec_b64 s[12:13], vcc
	s_cbranch_execz .LBB9_1030
; %bb.1025:
	s_mov_b32 s14, 0x37ffffff
	v_cmp_lt_u32_e32 vcc, s14, v3
	s_mov_b64 s[14:15], 0
                                        ; implicit-def: $vgpr3
	s_and_saveexec_b64 s[16:17], vcc
	s_xor_b64 s[16:17], exec, s[16:17]
	s_cbranch_execz .LBB9_1305
; %bb.1026:
	v_bfe_u32 v3, v2, 21, 1
	s_mov_b32 s18, 0x88fffff
	v_add3_u32 v3, v2, v3, s18
	s_mov_b64 s[14:15], exec
	v_lshrrev_b32_e32 v3, 21, v3
	s_or_saveexec_b64 s[16:17], s[16:17]
                                        ; implicit-def: $sgpr18
	s_xor_b64 exec, exec, s[16:17]
	s_cbranch_execnz .LBB9_1306
.LBB9_1027:
	s_or_b64 exec, exec, s[16:17]
	v_mov_b32_e32 v4, s18
	s_and_saveexec_b64 s[16:17], s[14:15]
.LBB9_1028:
	v_lshrrev_b32_e32 v2, 24, v2
	s_movk_i32 s14, 0x80
	v_and_or_b32 v4, v2, s14, v3
.LBB9_1029:
	s_or_b64 exec, exec, s[16:17]
.LBB9_1030:
	s_or_b64 exec, exec, s[12:13]
	s_mov_b64 s[12:13], 0
	global_store_byte v[6:7], v4, off
.LBB9_1031:
	s_and_b64 vcc, exec, s[12:13]
	s_cbranch_vccz .LBB9_1041
; %bb.1032:
	v_cvt_f32_f64_e32 v2, v[0:1]
	v_and_b32_e32 v4, 0x7fffffff, v2
	s_mov_b32 s12, 0x43f00000
	v_cmp_gt_u32_e32 vcc, s12, v4
                                        ; implicit-def: $vgpr3
	s_and_saveexec_b64 s[12:13], vcc
	s_xor_b64 s[12:13], exec, s[12:13]
	s_cbranch_execz .LBB9_1038
; %bb.1033:
	s_mov_b32 s14, 0x3c7fffff
	v_cmp_lt_u32_e32 vcc, s14, v4
                                        ; implicit-def: $vgpr3
	s_and_saveexec_b64 s[14:15], vcc
	s_xor_b64 s[14:15], exec, s[14:15]
; %bb.1034:
	v_bfe_u32 v3, v2, 20, 1
	s_mov_b32 s16, 0x407ffff
	v_add3_u32 v3, v2, v3, s16
	v_lshrrev_b32_e32 v4, 20, v3
	v_and_b32_e32 v3, 0xff00000, v3
	s_mov_b32 s16, 0x7f00000
	v_mov_b32_e32 v5, 0x7e
	v_cmp_ne_u32_e32 vcc, s16, v3
	v_cndmask_b32_e32 v3, v5, v4, vcc
; %bb.1035:
	s_andn2_saveexec_b64 s[14:15], s[14:15]
; %bb.1036:
	s_mov_b32 s16, 0x46800000
	v_add_f32_e64 v3, |v2|, s16
; %bb.1037:
	s_or_b64 exec, exec, s[14:15]
                                        ; implicit-def: $vgpr4
.LBB9_1038:
	s_andn2_saveexec_b64 s[12:13], s[12:13]
; %bb.1039:
	s_mov_b32 s14, 0x7f800000
	v_mov_b32_e32 v3, 0x7e
	v_mov_b32_e32 v5, 0x7f
	v_cmp_lt_u32_e32 vcc, s14, v4
	v_cndmask_b32_e32 v3, v3, v5, vcc
; %bb.1040:
	s_or_b64 exec, exec, s[12:13]
	v_lshrrev_b32_e32 v2, 24, v2
	s_movk_i32 s12, 0x80
	v_and_or_b32 v2, v2, s12, v3
	global_store_byte v[6:7], v2, off
.LBB9_1041:
	s_mov_b64 s[12:13], 0
.LBB9_1042:
	s_andn2_b64 vcc, exec, s[12:13]
	s_cbranch_vccnz .LBB9_1052
; %bb.1043:
	v_cvt_f32_f64_e32 v2, v[0:1]
	v_and_b32_e32 v4, 0x7fffffff, v2
	s_mov_b32 s12, 0x47800000
	v_cmp_gt_u32_e32 vcc, s12, v4
                                        ; implicit-def: $vgpr3
	s_and_saveexec_b64 s[12:13], vcc
	s_xor_b64 s[12:13], exec, s[12:13]
	s_cbranch_execz .LBB9_1049
; %bb.1044:
	s_mov_b32 s14, 0x387fffff
	v_cmp_lt_u32_e32 vcc, s14, v4
                                        ; implicit-def: $vgpr3
	s_and_saveexec_b64 s[14:15], vcc
	s_xor_b64 s[14:15], exec, s[14:15]
; %bb.1045:
	v_bfe_u32 v3, v2, 21, 1
	s_mov_b32 s16, 0x80fffff
	v_add3_u32 v3, v2, v3, s16
	v_lshrrev_b32_e32 v3, 21, v3
; %bb.1046:
	s_andn2_saveexec_b64 s[14:15], s[14:15]
; %bb.1047:
	s_mov_b32 s16, 0x43000000
	v_add_f32_e64 v3, |v2|, s16
; %bb.1048:
	s_or_b64 exec, exec, s[14:15]
                                        ; implicit-def: $vgpr4
.LBB9_1049:
	s_andn2_saveexec_b64 s[12:13], s[12:13]
; %bb.1050:
	s_mov_b32 s14, 0x7f800000
	v_mov_b32_e32 v3, 0x7c
	v_mov_b32_e32 v5, 0x7f
	v_cmp_lt_u32_e32 vcc, s14, v4
	v_cndmask_b32_e32 v3, v3, v5, vcc
; %bb.1051:
	s_or_b64 exec, exec, s[12:13]
	v_lshrrev_b32_e32 v2, 24, v2
	s_movk_i32 s12, 0x80
	v_and_or_b32 v2, v2, s12, v3
	global_store_byte v[6:7], v2, off
.LBB9_1052:
	s_mov_b64 s[12:13], 0
.LBB9_1053:
	s_andn2_b64 vcc, exec, s[12:13]
	s_mov_b64 s[12:13], 0
	s_cbranch_vccnz .LBB9_1065
; %bb.1054:
	v_cmp_lt_i16_e32 vcc, 14, v9
	s_mov_b64 s[14:15], -1
	s_cbranch_vccz .LBB9_1058
; %bb.1055:
	v_cmp_eq_u16_e32 vcc, 15, v9
	s_mov_b64 s[0:1], -1
	s_cbranch_vccz .LBB9_1057
; %bb.1056:
	v_cvt_f32_f64_e32 v2, v[0:1]
	v_bfe_u32 v3, v2, 16, 1
	s_movk_i32 s0, 0x7fff
	v_add3_u32 v3, v2, v3, s0
	v_lshrrev_b32_e32 v3, 16, v3
	v_mov_b32_e32 v4, 0x7fc0
	v_cmp_o_f32_e32 vcc, v2, v2
	v_cndmask_b32_e32 v2, v4, v3, vcc
	global_store_short v[6:7], v2, off
	s_mov_b64 s[0:1], 0
.LBB9_1057:
	s_mov_b64 s[14:15], 0
.LBB9_1058:
	s_and_b64 vcc, exec, s[14:15]
	s_cbranch_vccz .LBB9_1065
; %bb.1059:
	v_cmp_ne_u16_e32 vcc, 11, v9
	s_andn2_b64 s[0:1], s[0:1], exec
	s_and_b64 s[14:15], vcc, exec
	s_mov_b64 s[12:13], -1
	s_or_b64 s[0:1], s[0:1], s[14:15]
	s_branch .LBB9_1065
.LBB9_1060:
	s_or_b64 exec, exec, s[8:9]
	s_and_saveexec_b64 s[0:1], s[52:53]
	s_cbranch_execnz .LBB9_1066
.LBB9_1061:
	s_or_b64 exec, exec, s[0:1]
	s_and_saveexec_b64 s[0:1], s[12:13]
	s_xor_b64 s[0:1], exec, s[0:1]
	s_cbranch_execz .LBB9_1067
.LBB9_1062:
	v_cmp_neq_f64_e32 vcc, 0, v[0:1]
	v_cndmask_b32_e64 v2, 0, 1, vcc
	global_store_byte v[6:7], v2, off
	s_or_b64 exec, exec, s[0:1]
	s_and_saveexec_b64 s[0:1], s[10:11]
	s_xor_b64 s[0:1], exec, s[0:1]
	s_cbranch_execz .LBB9_1105
	s_branch .LBB9_1068
.LBB9_1063:
	s_mov_b64 s[12:13], 0
	s_mov_b64 s[10:11], -1
	s_mov_b64 s[0:1], s[52:53]
	s_branch .LBB9_1065
.LBB9_1064:
	s_mov_b64 s[12:13], 0
.LBB9_1065:
	s_andn2_b64 s[14:15], s[52:53], exec
	s_and_b64 s[0:1], s[0:1], exec
	s_and_b64 s[10:11], s[10:11], exec
	;; [unrolled: 1-line block ×3, first 2 shown]
	s_or_b64 s[52:53], s[14:15], s[0:1]
	s_or_b64 exec, exec, s[8:9]
	s_and_saveexec_b64 s[0:1], s[52:53]
	s_cbranch_execz .LBB9_1061
.LBB9_1066:
	s_or_b64 s[2:3], s[2:3], exec
	s_andn2_b64 s[12:13], s[12:13], exec
	s_trap 2
	s_or_b64 exec, exec, s[0:1]
	s_and_saveexec_b64 s[0:1], s[12:13]
	s_xor_b64 s[0:1], exec, s[0:1]
	s_cbranch_execnz .LBB9_1062
.LBB9_1067:
	s_or_b64 exec, exec, s[0:1]
	s_and_saveexec_b64 s[0:1], s[10:11]
	s_xor_b64 s[0:1], exec, s[0:1]
	s_cbranch_execz .LBB9_1105
.LBB9_1068:
	v_cmp_gt_i16_e32 vcc, 5, v9
	s_mov_b64 s[8:9], -1
	s_cbranch_vccnz .LBB9_1089
; %bb.1069:
	v_cmp_gt_i16_e32 vcc, 8, v9
	s_cbranch_vccnz .LBB9_1079
; %bb.1070:
	v_cmp_gt_i16_e32 vcc, 9, v9
	s_cbranch_vccnz .LBB9_1076
; %bb.1071:
	v_cmp_lt_i16_e32 vcc, 9, v9
	s_cbranch_vccz .LBB9_1073
; %bb.1072:
	v_mov_b32_e32 v2, 0
	v_mov_b32_e32 v3, v2
	s_mov_b64 s[8:9], 0
	global_store_dwordx4 v[6:7], v[0:3], off
.LBB9_1073:
	s_andn2_b64 vcc, exec, s[8:9]
	s_cbranch_vccnz .LBB9_1075
; %bb.1074:
	v_cvt_f32_f64_e32 v2, v[0:1]
	v_mov_b32_e32 v3, 0
	global_store_dwordx2 v[6:7], v[2:3], off
.LBB9_1075:
	s_mov_b64 s[8:9], 0
.LBB9_1076:
	s_andn2_b64 vcc, exec, s[8:9]
	s_cbranch_vccnz .LBB9_1078
; %bb.1077:
	v_cvt_f32_f64_e32 v2, v[0:1]
	v_cvt_f16_f32_e32 v2, v2
	global_store_dword v[6:7], v2, off
.LBB9_1078:
	s_mov_b64 s[8:9], 0
.LBB9_1079:
	s_andn2_b64 vcc, exec, s[8:9]
	s_cbranch_vccnz .LBB9_1088
; %bb.1080:
	v_cmp_gt_i16_e32 vcc, 6, v9
	s_mov_b64 s[8:9], -1
	s_cbranch_vccnz .LBB9_1086
; %bb.1081:
	v_cmp_lt_i16_e32 vcc, 6, v9
	s_cbranch_vccz .LBB9_1083
; %bb.1082:
	s_mov_b64 s[8:9], 0
	global_store_dwordx2 v[6:7], v[0:1], off
.LBB9_1083:
	s_andn2_b64 vcc, exec, s[8:9]
	s_cbranch_vccnz .LBB9_1085
; %bb.1084:
	v_cvt_f32_f64_e32 v2, v[0:1]
	global_store_dword v[6:7], v2, off
.LBB9_1085:
	s_mov_b64 s[8:9], 0
.LBB9_1086:
	s_andn2_b64 vcc, exec, s[8:9]
	s_cbranch_vccnz .LBB9_1088
; %bb.1087:
	v_cvt_f32_f64_e32 v2, v[0:1]
	v_cvt_f16_f32_e32 v2, v2
	global_store_short v[6:7], v2, off
.LBB9_1088:
	s_mov_b64 s[8:9], 0
.LBB9_1089:
	s_andn2_b64 vcc, exec, s[8:9]
	s_cbranch_vccnz .LBB9_1105
; %bb.1090:
	v_cmp_gt_i16_e32 vcc, 2, v9
	s_mov_b64 s[8:9], -1
	s_cbranch_vccnz .LBB9_1100
; %bb.1091:
	v_cmp_gt_i16_e32 vcc, 3, v9
	s_cbranch_vccnz .LBB9_1097
; %bb.1092:
	v_cmp_lt_i16_e32 vcc, 3, v9
	s_cbranch_vccz .LBB9_1094
; %bb.1093:
	v_trunc_f64_e32 v[2:3], v[0:1]
	s_movk_i32 s8, 0xffe0
	s_waitcnt vmcnt(0)
	v_ldexp_f64 v[4:5], v[2:3], s8
	v_floor_f64_e32 v[4:5], v[4:5]
	v_fmac_f64_e32 v[2:3], 0xc1f00000, v[4:5]
	v_cvt_i32_f64_e32 v11, v[4:5]
	v_cvt_u32_f64_e32 v10, v[2:3]
	s_mov_b64 s[8:9], 0
	global_store_dwordx2 v[6:7], v[10:11], off
.LBB9_1094:
	s_andn2_b64 vcc, exec, s[8:9]
	s_cbranch_vccnz .LBB9_1096
; %bb.1095:
	v_cvt_i32_f64_e32 v2, v[0:1]
	global_store_dword v[6:7], v2, off
.LBB9_1096:
	s_mov_b64 s[8:9], 0
.LBB9_1097:
	s_andn2_b64 vcc, exec, s[8:9]
	s_cbranch_vccnz .LBB9_1099
; %bb.1098:
	v_cvt_i32_f64_e32 v2, v[0:1]
	global_store_short v[6:7], v2, off
.LBB9_1099:
	s_mov_b64 s[8:9], 0
.LBB9_1100:
	s_andn2_b64 vcc, exec, s[8:9]
	s_cbranch_vccnz .LBB9_1105
; %bb.1101:
	v_cmp_lt_i16_e32 vcc, 0, v9
	s_mov_b64 s[8:9], -1
	s_cbranch_vccz .LBB9_1103
; %bb.1102:
	v_cvt_i32_f64_e32 v2, v[0:1]
	s_mov_b64 s[8:9], 0
	global_store_byte v[6:7], v2, off
.LBB9_1103:
	s_andn2_b64 vcc, exec, s[8:9]
	s_cbranch_vccnz .LBB9_1105
; %bb.1104:
	v_trunc_f64_e32 v[0:1], v[0:1]
	s_movk_i32 s8, 0xffe0
	v_ldexp_f64 v[2:3], v[0:1], s8
	v_floor_f64_e32 v[2:3], v[2:3]
	v_fmac_f64_e32 v[0:1], 0xc1f00000, v[2:3]
	v_cvt_u32_f64_e32 v0, v[0:1]
	global_store_byte v[6:7], v0, off
.LBB9_1105:
	s_or_b64 exec, exec, s[0:1]
	s_waitcnt lgkmcnt(0)
	s_and_b64 s[28:29], s[2:3], exec
                                        ; implicit-def: $vgpr16
                                        ; implicit-def: $vgpr9
.LBB9_1106:
	s_or_saveexec_b64 s[30:31], s[42:43]
	s_mov_b64 s[0:1], 0
                                        ; implicit-def: $vgpr0_vgpr1
                                        ; implicit-def: $vgpr2
                                        ; implicit-def: $vgpr12_vgpr13
	s_xor_b64 exec, exec, s[30:31]
	s_cbranch_execz .LBB9_1701
; %bb.1107:
	v_cndmask_b32_e64 v0, 0, 1, s[40:41]
	v_cmp_ne_u32_e64 s[0:1], 1, v0
	s_andn2_b64 vcc, exec, s[40:41]
	s_cbranch_vccnz .LBB9_1114
; %bb.1108:
	s_mov_b32 s2, 0
	s_cmp_lg_u32 s33, 0
	v_mov_b32_e32 v0, 0
	v_mov_b32_e32 v2, 0
	s_cbranch_scc0 .LBB9_1113
; %bb.1109:
	s_min_u32 s38, s74, 15
	s_add_i32 s38, s38, 1
	s_cmp_eq_u32 s74, 2
	s_cbranch_scc1 .LBB9_1115
; %bb.1110:
	s_add_u32 s6, s34, 0xc4
	s_addc_u32 s7, s35, 0
	s_and_b32 s2, s38, 28
	s_mov_b32 s3, 0
	v_mov_b32_e32 v2, 0
	s_mov_b64 s[36:37], s[34:35]
	v_mov_b32_e32 v1, v9
	v_mov_b32_e32 v0, 0
.LBB9_1111:                             ; =>This Inner Loop Header: Depth=1
	s_load_dwordx8 s[16:23], s[36:37], 0x4
	s_load_dwordx4 s[24:27], s[36:37], 0x24
	s_load_dwordx8 s[8:15], s[6:7], 0x0
	s_add_u32 s36, s36, 48
	s_addc_u32 s37, s37, 0
	s_waitcnt lgkmcnt(0)
	v_mul_hi_u32 v3, s17, v1
	v_add_u32_e32 v3, v1, v3
	v_lshrrev_b32_e32 v3, s18, v3
	s_waitcnt vmcnt(0)
	v_mul_lo_u32 v4, v3, s16
	v_mul_hi_u32 v5, s20, v3
	v_sub_u32_e32 v1, v1, v4
	v_add_u32_e32 v4, v3, v5
	v_lshrrev_b32_e32 v4, s21, v4
	v_mul_lo_u32 v6, v4, s19
	v_mul_hi_u32 v7, s23, v4
	v_sub_u32_e32 v3, v3, v6
	v_add_u32_e32 v6, v4, v7
	v_mul_lo_u32 v5, v1, s9
	v_mul_lo_u32 v1, v1, s8
	;; [unrolled: 1-line block ×4, first 2 shown]
	v_lshrrev_b32_e32 v6, s24, v6
	v_add3_u32 v2, v1, v2, v3
	v_mul_lo_u32 v1, v6, s22
	v_mul_hi_u32 v3, s26, v6
	v_sub_u32_e32 v1, v4, v1
	v_add_u32_e32 v3, v6, v3
	v_add3_u32 v0, v5, v0, v7
	v_mul_lo_u32 v4, v1, s12
	v_mul_lo_u32 v5, v1, s13
	v_lshrrev_b32_e32 v1, s27, v3
	s_add_i32 s3, s3, 4
	v_mul_lo_u32 v3, v1, s25
	s_add_u32 s6, s6, 32
	v_sub_u32_e32 v3, v6, v3
	s_addc_u32 s7, s7, 0
	v_mul_lo_u32 v6, v3, s14
	v_mul_lo_u32 v3, v3, s15
	s_cmp_lg_u32 s2, s3
	v_add3_u32 v0, v5, v0, v3
	v_add3_u32 v2, v4, v2, v6
	s_cbranch_scc1 .LBB9_1111
; %bb.1112:
	v_mov_b32_e32 v3, v0
	s_and_b32 s8, s38, 3
	s_cmp_eq_u32 s8, 0
	s_cbranch_scc0 .LBB9_1116
.LBB9_1113:
	s_cbranch_execz .LBB9_1119
	s_branch .LBB9_1121
.LBB9_1114:
                                        ; implicit-def: $vgpr0
                                        ; implicit-def: $vgpr2
	s_branch .LBB9_1119
.LBB9_1115:
	s_mov_b32 s3, s2
	v_pk_mov_b32 v[2:3], s[2:3], s[2:3] op_sel:[0,1]
                                        ; implicit-def: $vgpr0
	v_mov_b32_e32 v1, v9
	s_and_b32 s8, s38, 3
	s_cmp_eq_u32 s8, 0
	s_cbranch_scc1 .LBB9_1113
.LBB9_1116:
	s_lshl_b32 s3, s2, 3
	s_add_u32 s3, s3, s34
	s_addc_u32 s7, 0, s35
	s_add_u32 s6, s3, 0xc4
	s_addc_u32 s7, s7, 0
	s_mul_i32 s2, s2, 12
	s_add_u32 s2, s34, s2
	s_addc_u32 s3, 0, s35
.LBB9_1117:                             ; =>This Inner Loop Header: Depth=1
	s_load_dwordx2 s[10:11], s[2:3], 0x4
	s_load_dword s9, s[2:3], 0xc
	s_load_dwordx2 s[12:13], s[6:7], 0x0
	v_mov_b32_e32 v0, v3
	s_add_u32 s2, s2, 12
	s_waitcnt lgkmcnt(0)
	v_mul_hi_u32 v3, s11, v1
	v_add_u32_e32 v3, v1, v3
	v_lshrrev_b32_e32 v3, s9, v3
	s_addc_u32 s3, s3, 0
	s_waitcnt vmcnt(0)
	v_mul_lo_u32 v4, v3, s10
	s_add_u32 s6, s6, 8
	v_sub_u32_e32 v6, v1, v4
	v_mov_b32_e32 v1, v3
	s_addc_u32 s7, s7, 0
	s_add_i32 s8, s8, -1
	v_mad_u64_u32 v[4:5], s[10:11], v6, s13, v[0:1]
	v_mad_u64_u32 v[2:3], s[10:11], v6, s12, v[2:3]
	s_cmp_lg_u32 s8, 0
	v_mov_b32_e32 v3, v4
	s_cbranch_scc1 .LBB9_1117
; %bb.1118:
	v_mov_b32_e32 v0, v3
	s_cbranch_execnz .LBB9_1121
.LBB9_1119:
	s_load_dwordx4 s[8:11], s[34:35], 0x4
	s_load_dwordx2 s[2:3], s[34:35], 0xc4
	s_cmp_lt_u32 s33, 2
	s_waitcnt lgkmcnt(0)
	v_mul_hi_u32 v0, s9, v9
	v_add_u32_e32 v0, v9, v0
	v_lshrrev_b32_e32 v1, s10, v0
	v_mul_lo_u32 v0, v1, s8
	v_sub_u32_e32 v2, v9, v0
	v_mul_lo_u32 v0, v2, s3
	v_mul_lo_u32 v2, v2, s2
	s_cbranch_scc1 .LBB9_1121
; %bb.1120:
	s_load_dwordx4 s[8:11], s[34:35], 0x10
	s_load_dwordx2 s[2:3], s[34:35], 0xcc
	s_waitcnt lgkmcnt(0)
	v_mul_hi_u32 v3, s9, v1
	v_add_u32_e32 v3, v1, v3
	v_lshrrev_b32_e32 v3, s10, v3
	v_mul_lo_u32 v3, v3, s8
	v_sub_u32_e32 v1, v1, v3
	v_mad_u64_u32 v[2:3], s[6:7], v1, s2, v[2:3]
	v_mad_u64_u32 v[0:1], s[2:3], v1, s3, v[0:1]
.LBB9_1121:
	s_and_b64 vcc, exec, s[0:1]
	v_add_u32_e32 v1, 0x80, v9
	s_cbranch_vccnz .LBB9_1128
; %bb.1122:
	s_mov_b32 s2, 0
	s_cmp_lg_u32 s33, 0
	s_waitcnt vmcnt(0)
	v_mov_b32_e32 v4, 0
	v_mov_b32_e32 v6, 0
	s_cbranch_scc0 .LBB9_1127
; %bb.1123:
	s_min_u32 s38, s74, 15
	s_add_i32 s38, s38, 1
	s_cmp_eq_u32 s74, 2
	s_cbranch_scc1 .LBB9_1129
; %bb.1124:
	s_add_u32 s6, s34, 0xc4
	s_addc_u32 s7, s35, 0
	s_and_b32 s2, s38, 28
	s_mov_b32 s3, 0
	v_mov_b32_e32 v6, 0
	s_mov_b64 s[36:37], s[34:35]
	v_mov_b32_e32 v3, v1
	v_mov_b32_e32 v4, 0
.LBB9_1125:                             ; =>This Inner Loop Header: Depth=1
	s_load_dwordx8 s[16:23], s[36:37], 0x4
	s_load_dwordx4 s[24:27], s[36:37], 0x24
	s_load_dwordx8 s[8:15], s[6:7], 0x0
	s_add_u32 s36, s36, 48
	s_addc_u32 s37, s37, 0
	s_waitcnt lgkmcnt(0)
	v_mul_hi_u32 v5, s17, v3
	v_add_u32_e32 v5, v3, v5
	v_lshrrev_b32_e32 v5, s18, v5
	v_mul_lo_u32 v7, v5, s16
	v_mul_hi_u32 v8, s20, v5
	v_sub_u32_e32 v3, v3, v7
	v_add_u32_e32 v7, v5, v8
	v_lshrrev_b32_e32 v7, s21, v7
	v_mul_lo_u32 v10, v7, s19
	v_mul_hi_u32 v11, s23, v7
	v_sub_u32_e32 v5, v5, v10
	v_add_u32_e32 v10, v7, v11
	v_mul_lo_u32 v8, v3, s9
	v_mul_lo_u32 v3, v3, s8
	;; [unrolled: 1-line block ×4, first 2 shown]
	v_lshrrev_b32_e32 v10, s24, v10
	v_add3_u32 v5, v3, v6, v5
	v_mul_lo_u32 v3, v10, s22
	v_mul_hi_u32 v6, s26, v10
	v_sub_u32_e32 v3, v7, v3
	v_add_u32_e32 v6, v10, v6
	v_add3_u32 v4, v8, v4, v11
	v_mul_lo_u32 v7, v3, s12
	v_mul_lo_u32 v8, v3, s13
	v_lshrrev_b32_e32 v3, s27, v6
	s_add_i32 s3, s3, 4
	v_mul_lo_u32 v6, v3, s25
	s_add_u32 s6, s6, 32
	v_sub_u32_e32 v6, v10, v6
	s_addc_u32 s7, s7, 0
	v_mul_lo_u32 v10, v6, s14
	v_mul_lo_u32 v6, v6, s15
	s_cmp_lg_u32 s2, s3
	v_add3_u32 v4, v8, v4, v6
	v_add3_u32 v6, v7, v5, v10
	s_cbranch_scc1 .LBB9_1125
; %bb.1126:
	v_mov_b32_e32 v7, v4
	s_and_b32 s8, s38, 3
	s_cmp_eq_u32 s8, 0
	s_cbranch_scc0 .LBB9_1130
.LBB9_1127:
	s_cbranch_execz .LBB9_1133
	s_branch .LBB9_1135
.LBB9_1128:
                                        ; implicit-def: $vgpr4
                                        ; implicit-def: $vgpr6
	s_branch .LBB9_1133
.LBB9_1129:
	s_mov_b32 s3, s2
	v_pk_mov_b32 v[6:7], s[2:3], s[2:3] op_sel:[0,1]
                                        ; implicit-def: $vgpr4
	v_mov_b32_e32 v3, v1
	s_and_b32 s8, s38, 3
	s_cmp_eq_u32 s8, 0
	s_cbranch_scc1 .LBB9_1127
.LBB9_1130:
	s_lshl_b32 s3, s2, 3
	s_add_u32 s3, s3, s34
	s_addc_u32 s7, 0, s35
	s_add_u32 s6, s3, 0xc4
	s_addc_u32 s7, s7, 0
	s_mul_i32 s2, s2, 12
	s_add_u32 s2, s34, s2
	s_addc_u32 s3, 0, s35
.LBB9_1131:                             ; =>This Inner Loop Header: Depth=1
	s_load_dwordx2 s[10:11], s[2:3], 0x4
	s_load_dword s9, s[2:3], 0xc
	s_load_dwordx2 s[12:13], s[6:7], 0x0
	s_add_u32 s2, s2, 12
	v_mov_b32_e32 v4, v7
	s_waitcnt lgkmcnt(0)
	v_mul_hi_u32 v5, s11, v3
	v_add_u32_e32 v5, v3, v5
	v_lshrrev_b32_e32 v5, s9, v5
	s_addc_u32 s3, s3, 0
	v_mul_lo_u32 v7, v5, s10
	s_add_u32 s6, s6, 8
	v_sub_u32_e32 v7, v3, v7
	s_addc_u32 s7, s7, 0
	s_add_i32 s8, s8, -1
	v_mov_b32_e32 v3, v5
	v_mad_u64_u32 v[4:5], s[10:11], v7, s13, v[4:5]
	v_mad_u64_u32 v[6:7], s[10:11], v7, s12, v[6:7]
	s_cmp_lg_u32 s8, 0
	v_mov_b32_e32 v7, v4
	s_cbranch_scc1 .LBB9_1131
; %bb.1132:
	v_mov_b32_e32 v4, v7
	s_cbranch_execnz .LBB9_1135
.LBB9_1133:
	s_load_dwordx4 s[8:11], s[34:35], 0x4
	s_load_dwordx2 s[2:3], s[34:35], 0xc4
	s_cmp_lt_u32 s33, 2
	s_waitcnt lgkmcnt(0)
	v_mul_hi_u32 v3, s9, v1
	v_add_u32_e32 v3, v1, v3
	v_lshrrev_b32_e32 v3, s10, v3
	s_waitcnt vmcnt(0)
	v_mul_lo_u32 v4, v3, s8
	v_sub_u32_e32 v1, v1, v4
	v_mul_lo_u32 v4, v1, s3
	v_mul_lo_u32 v6, v1, s2
	s_cbranch_scc1 .LBB9_1135
; %bb.1134:
	s_load_dwordx4 s[8:11], s[34:35], 0x10
	s_load_dwordx2 s[2:3], s[34:35], 0xcc
	s_waitcnt lgkmcnt(0)
	v_mul_hi_u32 v1, s9, v3
	v_add_u32_e32 v1, v3, v1
	v_lshrrev_b32_e32 v1, s10, v1
	v_mul_lo_u32 v1, v1, s8
	v_sub_u32_e32 v1, v3, v1
	v_mad_u64_u32 v[6:7], s[6:7], v1, s2, v[6:7]
	v_mad_u64_u32 v[4:5], s[2:3], v1, s3, v[4:5]
.LBB9_1135:
	s_and_b64 vcc, exec, s[0:1]
	v_add_u32_e32 v1, 0x100, v9
	s_cbranch_vccnz .LBB9_1142
; %bb.1136:
	s_mov_b32 s2, 0
	s_cmp_lg_u32 s33, 0
	v_mov_b32_e32 v8, 0
	v_mov_b32_e32 v10, 0
	s_cbranch_scc0 .LBB9_1141
; %bb.1137:
	s_min_u32 s38, s74, 15
	s_add_i32 s38, s38, 1
	s_cmp_eq_u32 s74, 2
	s_cbranch_scc1 .LBB9_1143
; %bb.1138:
	s_add_u32 s6, s34, 0xc4
	s_addc_u32 s7, s35, 0
	s_and_b32 s2, s38, 28
	s_mov_b32 s3, 0
	v_mov_b32_e32 v10, 0
	s_mov_b64 s[36:37], s[34:35]
	v_mov_b32_e32 v3, v1
	v_mov_b32_e32 v8, 0
.LBB9_1139:                             ; =>This Inner Loop Header: Depth=1
	s_load_dwordx8 s[16:23], s[36:37], 0x4
	s_load_dwordx4 s[24:27], s[36:37], 0x24
	s_load_dwordx8 s[8:15], s[6:7], 0x0
	s_add_u32 s36, s36, 48
	s_addc_u32 s37, s37, 0
	s_waitcnt vmcnt(0) lgkmcnt(0)
	v_mul_hi_u32 v5, s17, v3
	v_add_u32_e32 v5, v3, v5
	v_lshrrev_b32_e32 v5, s18, v5
	v_mul_lo_u32 v7, v5, s16
	v_mul_hi_u32 v9, s20, v5
	v_sub_u32_e32 v3, v3, v7
	v_add_u32_e32 v7, v5, v9
	v_lshrrev_b32_e32 v7, s21, v7
	v_mul_lo_u32 v11, v7, s19
	v_mul_hi_u32 v12, s23, v7
	v_sub_u32_e32 v5, v5, v11
	v_add_u32_e32 v11, v7, v12
	v_mul_lo_u32 v9, v3, s9
	v_mul_lo_u32 v3, v3, s8
	;; [unrolled: 1-line block ×4, first 2 shown]
	v_lshrrev_b32_e32 v11, s24, v11
	v_add3_u32 v5, v3, v10, v5
	v_add3_u32 v8, v9, v8, v12
	v_mul_lo_u32 v3, v11, s22
	v_mul_hi_u32 v9, s26, v11
	v_sub_u32_e32 v3, v7, v3
	v_add_u32_e32 v7, v11, v9
	v_mul_lo_u32 v9, v3, s12
	v_mul_lo_u32 v10, v3, s13
	v_lshrrev_b32_e32 v3, s27, v7
	s_add_i32 s3, s3, 4
	v_mul_lo_u32 v7, v3, s25
	s_add_u32 s6, s6, 32
	v_sub_u32_e32 v7, v11, v7
	s_addc_u32 s7, s7, 0
	v_mul_lo_u32 v11, v7, s14
	v_mul_lo_u32 v7, v7, s15
	s_cmp_lg_u32 s2, s3
	v_add3_u32 v8, v10, v8, v7
	v_add3_u32 v10, v9, v5, v11
	s_cbranch_scc1 .LBB9_1139
; %bb.1140:
	v_mov_b32_e32 v11, v8
	s_and_b32 s8, s38, 3
	s_cmp_eq_u32 s8, 0
	s_cbranch_scc0 .LBB9_1144
.LBB9_1141:
	s_cbranch_execz .LBB9_1147
	s_branch .LBB9_1149
.LBB9_1142:
                                        ; implicit-def: $vgpr8
                                        ; implicit-def: $vgpr10
	s_branch .LBB9_1147
.LBB9_1143:
	s_mov_b32 s3, s2
	v_pk_mov_b32 v[10:11], s[2:3], s[2:3] op_sel:[0,1]
                                        ; implicit-def: $vgpr8
	v_mov_b32_e32 v3, v1
	s_and_b32 s8, s38, 3
	s_cmp_eq_u32 s8, 0
	s_cbranch_scc1 .LBB9_1141
.LBB9_1144:
	s_lshl_b32 s3, s2, 3
	s_add_u32 s3, s3, s34
	s_addc_u32 s7, 0, s35
	s_add_u32 s6, s3, 0xc4
	s_addc_u32 s7, s7, 0
	s_mul_i32 s2, s2, 12
	s_add_u32 s2, s34, s2
	s_addc_u32 s3, 0, s35
.LBB9_1145:                             ; =>This Inner Loop Header: Depth=1
	s_load_dwordx2 s[10:11], s[2:3], 0x4
	s_load_dword s9, s[2:3], 0xc
	s_load_dwordx2 s[12:13], s[6:7], 0x0
	s_add_u32 s2, s2, 12
	s_addc_u32 s3, s3, 0
	s_waitcnt vmcnt(0) lgkmcnt(0)
	v_mul_hi_u32 v5, s11, v3
	v_add_u32_e32 v5, v3, v5
	v_lshrrev_b32_e32 v5, s9, v5
	v_mul_lo_u32 v7, v5, s10
	v_mov_b32_e32 v8, v11
	s_add_u32 s6, s6, 8
	v_sub_u32_e32 v7, v3, v7
	s_addc_u32 s7, s7, 0
	s_add_i32 s8, s8, -1
	v_mad_u64_u32 v[8:9], s[10:11], v7, s13, v[8:9]
	v_mad_u64_u32 v[10:11], s[10:11], v7, s12, v[10:11]
	s_cmp_lg_u32 s8, 0
	v_mov_b32_e32 v3, v5
	v_mov_b32_e32 v11, v8
	s_cbranch_scc1 .LBB9_1145
; %bb.1146:
	v_mov_b32_e32 v8, v11
	s_cbranch_execnz .LBB9_1149
.LBB9_1147:
	s_load_dwordx4 s[8:11], s[34:35], 0x4
	s_load_dwordx2 s[2:3], s[34:35], 0xc4
	s_cmp_lt_u32 s33, 2
	s_waitcnt lgkmcnt(0)
	v_mul_hi_u32 v3, s9, v1
	v_add_u32_e32 v3, v1, v3
	v_lshrrev_b32_e32 v3, s10, v3
	s_waitcnt vmcnt(0)
	v_mul_lo_u32 v5, v3, s8
	v_sub_u32_e32 v1, v1, v5
	v_mul_lo_u32 v8, v1, s3
	v_mul_lo_u32 v10, v1, s2
	s_cbranch_scc1 .LBB9_1149
; %bb.1148:
	s_load_dwordx4 s[8:11], s[34:35], 0x10
	s_load_dwordx2 s[2:3], s[34:35], 0xcc
	s_waitcnt lgkmcnt(0)
	v_mul_hi_u32 v1, s9, v3
	v_add_u32_e32 v1, v3, v1
	v_lshrrev_b32_e32 v1, s10, v1
	v_mul_lo_u32 v1, v1, s8
	v_sub_u32_e32 v1, v3, v1
	v_mad_u64_u32 v[10:11], s[6:7], v1, s2, v[10:11]
	v_mad_u64_u32 v[8:9], s[2:3], v1, s3, v[8:9]
.LBB9_1149:
	s_and_b64 vcc, exec, s[0:1]
	s_cbranch_vccnz .LBB9_1156
; %bb.1150:
	s_mov_b32 s6, 0
	s_cmp_lg_u32 s33, 0
	v_mov_b32_e32 v12, 0
	v_mov_b32_e32 v14, 0
	s_cbranch_scc0 .LBB9_1155
; %bb.1151:
	s_min_u32 s36, s74, 15
	s_add_i32 s36, s36, 1
	s_cmp_eq_u32 s74, 2
	s_cbranch_scc1 .LBB9_1157
; %bb.1152:
	s_add_u32 s24, s34, 0xc4
	s_addc_u32 s25, s35, 0
	s_and_b32 s6, s36, 28
	s_mov_b32 s7, 0
	v_mov_b32_e32 v14, 0
	s_mov_b64 s[26:27], s[34:35]
	v_mov_b32_e32 v1, v16
	v_mov_b32_e32 v12, 0
.LBB9_1153:                             ; =>This Inner Loop Header: Depth=1
	s_load_dwordx8 s[16:23], s[26:27], 0x4
	s_load_dwordx4 s[0:3], s[26:27], 0x24
	s_load_dwordx8 s[8:15], s[24:25], 0x0
	s_add_u32 s26, s26, 48
	s_addc_u32 s27, s27, 0
	s_waitcnt lgkmcnt(0)
	v_mul_hi_u32 v3, s17, v1
	v_add_u32_e32 v3, v1, v3
	v_lshrrev_b32_e32 v3, s18, v3
	s_waitcnt vmcnt(0)
	v_mul_lo_u32 v5, v3, s16
	v_mul_hi_u32 v7, s20, v3
	v_sub_u32_e32 v1, v1, v5
	v_add_u32_e32 v5, v3, v7
	v_lshrrev_b32_e32 v5, s21, v5
	v_mul_lo_u32 v9, v5, s19
	v_mul_hi_u32 v11, s23, v5
	v_sub_u32_e32 v3, v3, v9
	v_add_u32_e32 v9, v5, v11
	v_mul_lo_u32 v7, v1, s9
	v_mul_lo_u32 v1, v1, s8
	;; [unrolled: 1-line block ×4, first 2 shown]
	v_lshrrev_b32_e32 v9, s0, v9
	v_add3_u32 v3, v1, v14, v3
	v_add3_u32 v7, v7, v12, v11
	v_mul_lo_u32 v1, v9, s22
	v_mul_hi_u32 v11, s2, v9
	v_sub_u32_e32 v1, v5, v1
	v_add_u32_e32 v5, v9, v11
	v_mul_lo_u32 v11, v1, s12
	v_mul_lo_u32 v12, v1, s13
	v_lshrrev_b32_e32 v1, s3, v5
	s_add_i32 s7, s7, 4
	v_mul_lo_u32 v5, v1, s1
	s_add_u32 s24, s24, 32
	v_sub_u32_e32 v5, v9, v5
	s_addc_u32 s25, s25, 0
	v_mul_lo_u32 v9, v5, s14
	v_mul_lo_u32 v5, v5, s15
	s_cmp_lg_u32 s6, s7
	v_add3_u32 v12, v12, v7, v5
	v_add3_u32 v14, v11, v3, v9
	s_cbranch_scc1 .LBB9_1153
; %bb.1154:
	v_mov_b32_e32 v15, v12
	s_and_b32 s7, s36, 3
	s_cmp_eq_u32 s7, 0
	s_cbranch_scc0 .LBB9_1158
.LBB9_1155:
	s_cbranch_execz .LBB9_1161
	s_branch .LBB9_1163
.LBB9_1156:
                                        ; implicit-def: $vgpr12
                                        ; implicit-def: $vgpr14
	s_branch .LBB9_1161
.LBB9_1157:
	s_mov_b32 s7, s6
	v_pk_mov_b32 v[14:15], s[6:7], s[6:7] op_sel:[0,1]
                                        ; implicit-def: $vgpr12
	v_mov_b32_e32 v1, v16
	s_and_b32 s7, s36, 3
	s_cmp_eq_u32 s7, 0
	s_cbranch_scc1 .LBB9_1155
.LBB9_1158:
	s_lshl_b32 s0, s6, 3
	s_add_u32 s0, s0, s34
	s_addc_u32 s1, 0, s35
	s_add_u32 s0, s0, 0xc4
	s_addc_u32 s1, s1, 0
	s_mul_i32 s2, s6, 12
	s_add_u32 s2, s34, s2
	s_addc_u32 s3, 0, s35
.LBB9_1159:                             ; =>This Inner Loop Header: Depth=1
	s_load_dwordx2 s[8:9], s[2:3], 0x4
	s_load_dword s6, s[2:3], 0xc
	s_load_dwordx2 s[10:11], s[0:1], 0x0
	s_add_u32 s2, s2, 12
	s_addc_u32 s3, s3, 0
	s_waitcnt lgkmcnt(0)
	v_mul_hi_u32 v3, s9, v1
	v_add_u32_e32 v3, v1, v3
	v_lshrrev_b32_e32 v3, s6, v3
	s_waitcnt vmcnt(0)
	v_mul_lo_u32 v5, v3, s8
	v_mov_b32_e32 v12, v15
	s_add_u32 s0, s0, 8
	v_sub_u32_e32 v5, v1, v5
	s_addc_u32 s1, s1, 0
	s_add_i32 s7, s7, -1
	v_mad_u64_u32 v[12:13], s[8:9], v5, s11, v[12:13]
	v_mad_u64_u32 v[14:15], s[8:9], v5, s10, v[14:15]
	s_cmp_lg_u32 s7, 0
	v_mov_b32_e32 v1, v3
	v_mov_b32_e32 v15, v12
	s_cbranch_scc1 .LBB9_1159
; %bb.1160:
	v_mov_b32_e32 v12, v15
	s_cbranch_execnz .LBB9_1163
.LBB9_1161:
	s_load_dwordx4 s[0:3], s[34:35], 0x4
	s_load_dwordx2 s[6:7], s[34:35], 0xc4
	s_cmp_lt_u32 s33, 2
	s_waitcnt lgkmcnt(0)
	v_mul_hi_u32 v1, s1, v16
	v_add_u32_e32 v1, v16, v1
	v_lshrrev_b32_e32 v1, s2, v1
	v_mul_lo_u32 v3, v1, s0
	v_sub_u32_e32 v3, v16, v3
	v_mul_lo_u32 v12, v3, s7
	v_mul_lo_u32 v14, v3, s6
	s_cbranch_scc1 .LBB9_1163
; %bb.1162:
	s_load_dwordx4 s[0:3], s[34:35], 0x10
	s_load_dwordx2 s[6:7], s[34:35], 0xcc
	s_waitcnt lgkmcnt(0)
	v_mul_hi_u32 v3, s1, v1
	v_add_u32_e32 v3, v1, v3
	v_lshrrev_b32_e32 v3, s2, v3
	v_mul_lo_u32 v3, v3, s0
	v_sub_u32_e32 v1, v1, v3
	v_mad_u64_u32 v[14:15], s[0:1], v1, s6, v[14:15]
	v_mad_u64_u32 v[12:13], s[0:1], v1, s7, v[12:13]
.LBB9_1163:
	s_load_dword s18, s[4:5], 0x160
	s_load_dwordx4 s[8:11], s[34:35], 0x148
	v_mov_b32_e32 v3, 11
	s_waitcnt lgkmcnt(0)
	s_lshr_b32 s19, s18, 16
	v_mov_b32_e32 v1, s11
	v_add_co_u32_e32 v0, vcc, s10, v0
	v_addc_co_u32_e32 v1, vcc, 0, v1, vcc
	v_cmp_lt_i16_sdwa s[0:1], s19, v3 src0_sel:BYTE_0 src1_sel:DWORD
	s_and_b64 vcc, exec, s[0:1]
	s_cbranch_vccnz .LBB9_1170
; %bb.1164:
	v_mov_b32_e32 v3, 25
	v_cmp_gt_i16_sdwa s[0:1], s19, v3 src0_sel:BYTE_0 src1_sel:DWORD
	s_mov_b64 s[4:5], 0
	s_and_b64 vcc, exec, s[0:1]
	s_cbranch_vccz .LBB9_1172
; %bb.1165:
	v_mov_b32_e32 v3, 28
	v_cmp_gt_i16_sdwa s[0:1], s19, v3 src0_sel:BYTE_0 src1_sel:DWORD
	s_and_b64 vcc, exec, s[0:1]
	s_cbranch_vccz .LBB9_1173
; %bb.1166:
	v_mov_b32_e32 v3, 43
	v_cmp_gt_i16_sdwa s[0:1], s19, v3 src0_sel:BYTE_0 src1_sel:DWORD
	;; [unrolled: 5-line block ×3, first 2 shown]
	s_and_b64 vcc, exec, s[0:1]
	s_cbranch_vccz .LBB9_1175
; %bb.1168:
	v_mov_b32_e32 v3, 46
	v_cmp_eq_u16_sdwa s[0:1], s19, v3 src0_sel:BYTE_0 src1_sel:DWORD
	s_mov_b64 s[2:3], 0
	s_and_b64 vcc, exec, s[0:1]
	s_cbranch_vccz .LBB9_1178
; %bb.1169:
	global_load_dword v3, v[0:1], off
	s_mov_b64 s[0:1], 0
	s_mov_b64 s[6:7], -1
	s_waitcnt vmcnt(0)
	v_lshlrev_b32_e32 v3, 16, v3
	v_cvt_f64_f32_e32 v[16:17], v3
	s_branch .LBB9_1179
.LBB9_1170:
	s_mov_b64 s[6:7], 0
                                        ; implicit-def: $vgpr16_vgpr17
	s_mov_b64 s[2:3], s[28:29]
	s_cbranch_execnz .LBB9_1242
.LBB9_1171:
	s_andn2_b64 vcc, exec, s[6:7]
	s_cbranch_vccz .LBB9_1287
	s_branch .LBB9_1698
.LBB9_1172:
	s_mov_b64 s[6:7], 0
	s_mov_b64 s[0:1], 0
                                        ; implicit-def: $vgpr16_vgpr17
	s_cbranch_execnz .LBB9_1207
	s_branch .LBB9_1238
.LBB9_1173:
	s_mov_b64 s[2:3], -1
	s_mov_b64 s[6:7], 0
	s_mov_b64 s[0:1], 0
                                        ; implicit-def: $vgpr16_vgpr17
	s_branch .LBB9_1188
.LBB9_1174:
	s_mov_b64 s[6:7], 0
	s_mov_b64 s[0:1], 0
                                        ; implicit-def: $vgpr16_vgpr17
	s_cbranch_execnz .LBB9_1184
	s_branch .LBB9_1187
.LBB9_1175:
	s_mov_b64 s[2:3], -1
	s_mov_b64 s[6:7], 0
	s_mov_b64 s[0:1], 0
                                        ; implicit-def: $vgpr16_vgpr17
	s_branch .LBB9_1179
.LBB9_1176:
	s_or_saveexec_b64 s[14:15], s[14:15]
                                        ; implicit-def: $sgpr16
	s_xor_b64 exec, exec, s[14:15]
	s_cbranch_execz .LBB9_1015
.LBB9_1177:
	s_mov_b32 s16, 0x46000000
	v_add_f32_e64 v3, |v2|, s16
	v_and_b32_e32 v3, 0xff, v3
	v_cmp_ne_u32_e32 vcc, 0, v3
	s_andn2_b64 s[12:13], s[12:13], exec
	s_and_b64 s[18:19], vcc, exec
	s_mov_b32 s16, 0
	s_or_b64 s[12:13], s[12:13], s[18:19]
	s_or_b64 exec, exec, s[14:15]
	v_mov_b32_e32 v4, s16
	s_and_saveexec_b64 s[14:15], s[12:13]
	s_cbranch_execnz .LBB9_1016
	s_branch .LBB9_1017
.LBB9_1178:
	s_mov_b64 s[0:1], -1
                                        ; implicit-def: $vgpr16_vgpr17
	s_mov_b64 s[6:7], 0
.LBB9_1179:
	s_and_b64 vcc, exec, s[2:3]
	s_cbranch_vccz .LBB9_1182
; %bb.1180:
	v_mov_b32_e32 v3, 44
	v_cmp_eq_u16_sdwa s[0:1], s19, v3 src0_sel:BYTE_0 src1_sel:DWORD
	s_and_b64 vcc, exec, s[0:1]
	s_cbranch_vccz .LBB9_1183
; %bb.1181:
	global_load_ubyte v3, v[0:1], off
	s_movk_i32 s2, 0xff
	s_waitcnt vmcnt(1)
	v_bfrev_b32_e32 v5, 4
	v_mov_b32_e32 v7, 0x7ff80000
	v_bfrev_b32_e32 v9, 28
	s_mov_b64 s[0:1], 0
	s_mov_b64 s[6:7], -1
	s_waitcnt vmcnt(0)
	v_lshlrev_b32_e32 v11, 23, v3
	v_cvt_f64_f32_e32 v[16:17], v11
	v_cmp_ne_u32_e32 vcc, s2, v3
	v_cndmask_b32_e32 v5, v5, v16, vcc
	v_cndmask_b32_e32 v7, v7, v17, vcc
	v_cmp_ne_u32_e32 vcc, 0, v3
	v_cndmask_b32_e32 v17, v9, v7, vcc
	v_cndmask_b32_e32 v16, 0, v5, vcc
.LBB9_1182:
	s_branch .LBB9_1187
.LBB9_1183:
	s_mov_b64 s[0:1], -1
                                        ; implicit-def: $vgpr16_vgpr17
	s_branch .LBB9_1187
.LBB9_1184:
	v_mov_b32_e32 v3, 29
	v_cmp_eq_u16_sdwa s[0:1], s19, v3 src0_sel:BYTE_0 src1_sel:DWORD
	s_and_b64 vcc, exec, s[0:1]
	s_cbranch_vccz .LBB9_1186
; %bb.1185:
	global_load_dwordx2 v[16:17], v[0:1], off
	s_mov_b64 s[0:1], 0
	s_mov_b64 s[6:7], -1
	s_mov_b64 s[2:3], 0
	s_waitcnt vmcnt(0)
	v_cvt_f64_u32_e32 v[18:19], v17
	v_cvt_f64_u32_e32 v[16:17], v16
	v_ldexp_f64 v[18:19], v[18:19], 32
	v_add_f64 v[16:17], v[18:19], v[16:17]
	s_branch .LBB9_1188
.LBB9_1186:
	s_mov_b64 s[0:1], -1
                                        ; implicit-def: $vgpr16_vgpr17
.LBB9_1187:
	s_mov_b64 s[2:3], 0
.LBB9_1188:
	s_and_b64 vcc, exec, s[2:3]
	s_cbranch_vccz .LBB9_1206
; %bb.1189:
	v_mov_b32_e32 v3, 27
	v_cmp_lt_i16_sdwa s[2:3], s19, v3 src0_sel:BYTE_0 src1_sel:DWORD
	s_and_b64 vcc, exec, s[2:3]
	s_cbranch_vccnz .LBB9_1192
; %bb.1190:
	v_cmp_gt_i16_sdwa s[2:3], s19, v3 src0_sel:BYTE_0 src1_sel:DWORD
	s_and_b64 vcc, exec, s[2:3]
	s_cbranch_vccz .LBB9_1193
; %bb.1191:
	global_load_dword v3, v[0:1], off
	s_mov_b64 s[2:3], 0
	s_waitcnt vmcnt(0)
	v_cvt_f64_u32_e32 v[16:17], v3
	s_branch .LBB9_1194
.LBB9_1192:
	s_mov_b64 s[2:3], -1
                                        ; implicit-def: $vgpr16_vgpr17
	s_branch .LBB9_1197
.LBB9_1193:
	s_mov_b64 s[2:3], -1
                                        ; implicit-def: $vgpr16_vgpr17
.LBB9_1194:
	s_andn2_b64 vcc, exec, s[2:3]
	s_cbranch_vccnz .LBB9_1196
; %bb.1195:
	global_load_ushort v3, v[0:1], off
	s_waitcnt vmcnt(0)
	v_cvt_f64_u32_e32 v[16:17], v3
.LBB9_1196:
	s_mov_b64 s[2:3], 0
.LBB9_1197:
	s_andn2_b64 vcc, exec, s[2:3]
	s_cbranch_vccnz .LBB9_1205
; %bb.1198:
	global_load_ubyte v3, v[0:1], off
	s_movk_i32 s2, 0x7f
                                        ; implicit-def: $sgpr6_sgpr7
	s_waitcnt vmcnt(0)
	v_cmp_lt_i16_e32 vcc, s2, v3
	s_mov_b64 s[2:3], 0
	s_and_saveexec_b64 s[12:13], vcc
	s_xor_b64 s[12:13], exec, s[12:13]
	s_cbranch_execz .LBB9_1218
; %bb.1199:
	s_movk_i32 s2, 0x80
	v_cmp_eq_u16_e32 vcc, s2, v3
	s_mov_b64 s[14:15], -1
                                        ; implicit-def: $sgpr6_sgpr7
	s_and_saveexec_b64 s[2:3], vcc
; %bb.1200:
	s_mov_b32 s7, 0x7ff80000
	s_brev_b32 s6, 4
	s_xor_b64 s[14:15], exec, -1
; %bb.1201:
	s_or_b64 exec, exec, s[2:3]
	s_and_b64 s[2:3], s[14:15], exec
	s_or_saveexec_b64 s[12:13], s[12:13]
	v_pk_mov_b32 v[16:17], s[6:7], s[6:7] op_sel:[0,1]
	s_xor_b64 exec, exec, s[12:13]
	s_cbranch_execnz .LBB9_1219
.LBB9_1202:
	s_or_b64 exec, exec, s[12:13]
	s_and_saveexec_b64 s[6:7], s[2:3]
	s_cbranch_execz .LBB9_1204
.LBB9_1203:
	v_lshlrev_b32_e32 v5, 24, v3
	v_and_b32_e32 v3, 0xffff, v3
	v_and_b32_e32 v7, 7, v3
	v_ffbh_u32_e32 v11, v7
	v_min_u32_e32 v11, 32, v11
	v_subrev_u32_e32 v13, 28, v11
	v_bfe_u32 v9, v3, 3, 4
	v_lshlrev_b32_e32 v3, v13, v3
	v_sub_u32_e32 v11, 29, v11
	v_and_b32_e32 v3, 7, v3
	v_cmp_eq_u32_e32 vcc, 0, v9
	v_cndmask_b32_e32 v9, v9, v11, vcc
	v_cndmask_b32_e32 v3, v7, v3, vcc
	v_mov_b32_e32 v7, 0x3b800000
	v_lshlrev_b32_e32 v3, 20, v3
	v_and_b32_e32 v5, 0x80000000, v5
	v_lshl_add_u32 v7, v9, 23, v7
	v_or3_b32 v3, v5, v7, v3
	v_cvt_f64_f32_e32 v[16:17], v3
.LBB9_1204:
	s_or_b64 exec, exec, s[6:7]
.LBB9_1205:
	s_mov_b64 s[6:7], -1
.LBB9_1206:
	s_branch .LBB9_1238
.LBB9_1207:
	v_mov_b32_e32 v3, 22
	v_cmp_gt_i16_sdwa s[2:3], s19, v3 src0_sel:BYTE_0 src1_sel:DWORD
	s_and_b64 vcc, exec, s[2:3]
	s_cbranch_vccz .LBB9_1217
; %bb.1208:
	v_mov_b32_e32 v3, 24
	v_cmp_lt_i16_sdwa s[2:3], s19, v3 src0_sel:BYTE_0 src1_sel:DWORD
	s_and_b64 vcc, exec, s[2:3]
	s_cbranch_vccnz .LBB9_1220
; %bb.1209:
	v_cmp_gt_i16_sdwa s[2:3], s19, v3 src0_sel:BYTE_0 src1_sel:DWORD
	s_and_b64 vcc, exec, s[2:3]
	s_cbranch_vccz .LBB9_1221
; %bb.1210:
	global_load_ubyte v3, v[0:1], off
	s_movk_i32 s2, 0x7f
                                        ; implicit-def: $sgpr4_sgpr5
	s_waitcnt vmcnt(0)
	v_cmp_lt_i16_e32 vcc, s2, v3
	s_mov_b64 s[2:3], 0
	s_and_saveexec_b64 s[6:7], vcc
	s_xor_b64 s[6:7], exec, s[6:7]
	s_cbranch_execz .LBB9_1232
; %bb.1211:
	s_movk_i32 s2, 0x80
	v_cmp_eq_u16_e32 vcc, s2, v3
	s_mov_b64 s[12:13], -1
                                        ; implicit-def: $sgpr4_sgpr5
	s_and_saveexec_b64 s[2:3], vcc
; %bb.1212:
	s_mov_b32 s5, 0x7ff80000
	s_brev_b32 s4, 4
	s_xor_b64 s[12:13], exec, -1
; %bb.1213:
	s_or_b64 exec, exec, s[2:3]
	s_and_b64 s[2:3], s[12:13], exec
	s_or_saveexec_b64 s[6:7], s[6:7]
	v_pk_mov_b32 v[16:17], s[4:5], s[4:5] op_sel:[0,1]
	s_xor_b64 exec, exec, s[6:7]
	s_cbranch_execnz .LBB9_1233
.LBB9_1214:
	s_or_b64 exec, exec, s[6:7]
	s_and_saveexec_b64 s[4:5], s[2:3]
	s_cbranch_execz .LBB9_1216
.LBB9_1215:
	v_lshlrev_b32_e32 v5, 24, v3
	v_and_b32_e32 v3, 0xffff, v3
	v_and_b32_e32 v7, 3, v3
	v_ffbh_u32_e32 v11, v7
	v_min_u32_e32 v11, 32, v11
	v_subrev_u32_e32 v13, 29, v11
	v_bfe_u32 v9, v3, 2, 5
	v_lshlrev_b32_e32 v3, v13, v3
	v_sub_u32_e32 v11, 30, v11
	v_and_b32_e32 v3, 3, v3
	v_cmp_eq_u32_e32 vcc, 0, v9
	v_cndmask_b32_e32 v9, v9, v11, vcc
	v_cndmask_b32_e32 v3, v7, v3, vcc
	v_mov_b32_e32 v7, 0x37800000
	v_lshlrev_b32_e32 v3, 21, v3
	v_and_b32_e32 v5, 0x80000000, v5
	v_lshl_add_u32 v7, v9, 23, v7
	v_or3_b32 v3, v5, v7, v3
	v_cvt_f64_f32_e32 v[16:17], v3
.LBB9_1216:
	s_or_b64 exec, exec, s[4:5]
	s_mov_b64 s[2:3], 0
	s_branch .LBB9_1222
.LBB9_1217:
                                        ; implicit-def: $vgpr16_vgpr17
	s_mov_b64 s[4:5], 0
	s_branch .LBB9_1228
.LBB9_1218:
	s_or_saveexec_b64 s[12:13], s[12:13]
	v_pk_mov_b32 v[16:17], s[6:7], s[6:7] op_sel:[0,1]
	s_xor_b64 exec, exec, s[12:13]
	s_cbranch_execz .LBB9_1202
.LBB9_1219:
	v_cmp_ne_u16_e32 vcc, 0, v3
	s_andn2_b64 s[2:3], s[2:3], exec
	s_and_b64 s[6:7], vcc, exec
	v_pk_mov_b32 v[16:17], 0, 0
	s_or_b64 s[2:3], s[2:3], s[6:7]
	s_or_b64 exec, exec, s[12:13]
	s_and_saveexec_b64 s[6:7], s[2:3]
	s_cbranch_execnz .LBB9_1203
	s_branch .LBB9_1204
.LBB9_1220:
	s_mov_b64 s[2:3], -1
                                        ; implicit-def: $vgpr16_vgpr17
	s_branch .LBB9_1225
.LBB9_1221:
	s_mov_b64 s[2:3], -1
                                        ; implicit-def: $vgpr16_vgpr17
.LBB9_1222:
	s_and_b64 vcc, exec, s[2:3]
	s_cbranch_vccz .LBB9_1224
; %bb.1223:
	global_load_ubyte v3, v[0:1], off
	s_mov_b32 s2, 0x7f800000
	s_waitcnt vmcnt(0)
	v_lshlrev_b32_e32 v3, 24, v3
	v_and_b32_e32 v5, 0x7f000000, v3
	v_ffbh_u32_e32 v7, v5
	v_min_u32_e32 v7, 32, v7
	v_sub_u32_e64 v7, v7, 4 clamp
	v_lshlrev_b32_e32 v11, v7, v5
	v_lshlrev_b32_e32 v7, 23, v7
	v_lshrrev_b32_e32 v11, 4, v11
	v_add_u32_e32 v9, 0x1000000, v5
	v_sub_u32_e32 v7, v11, v7
	v_ashrrev_i32_e32 v9, 8, v9
	v_add_u32_e32 v7, 0x3c000000, v7
	v_and_or_b32 v7, v9, s2, v7
	v_cmp_ne_u32_e32 vcc, 0, v5
	v_cndmask_b32_e32 v5, 0, v7, vcc
	s_brev_b32 s2, 1
	v_and_or_b32 v3, v3, s2, v5
	v_cvt_f64_f32_e32 v[16:17], v3
.LBB9_1224:
	s_mov_b64 s[2:3], 0
.LBB9_1225:
	s_andn2_b64 vcc, exec, s[2:3]
	s_cbranch_vccnz .LBB9_1227
; %bb.1226:
	global_load_ubyte v3, v[0:1], off
	s_movk_i32 s2, 0x7f00
	s_brev_b32 s3, 16
	s_waitcnt vmcnt(0)
	v_lshlrev_b16_e32 v5, 8, v3
	v_lshlrev_b32_e32 v3, 25, v3
	v_lshrrev_b32_e32 v7, 4, v3
	v_and_or_b32 v9, v5, s2, 0.5
	v_or_b32_e32 v7, 0x70000000, v7
	v_add_f32_e32 v9, -0.5, v9
	v_mul_f32_e32 v7, 0x7800000, v7
	v_cmp_gt_u32_e32 vcc, s3, v3
	v_bfe_i32 v5, v5, 0, 16
	v_cndmask_b32_e32 v3, v7, v9, vcc
	s_brev_b32 s2, 1
	v_and_or_b32 v3, v5, s2, v3
	v_cvt_f64_f32_e32 v[16:17], v3
.LBB9_1227:
	s_mov_b64 s[6:7], -1
	s_mov_b64 s[4:5], 0
	s_cbranch_execnz .LBB9_1238
.LBB9_1228:
	v_mov_b32_e32 v3, 14
	v_cmp_gt_i16_sdwa s[2:3], s19, v3 src0_sel:BYTE_0 src1_sel:DWORD
	s_and_b64 vcc, exec, s[2:3]
	s_cbranch_vccz .LBB9_1231
; %bb.1229:
	v_mov_b32_e32 v3, 15
	v_cmp_eq_u16_sdwa s[0:1], s19, v3 src0_sel:BYTE_0 src1_sel:DWORD
	s_and_b64 vcc, exec, s[0:1]
	s_cbranch_vccz .LBB9_1234
; %bb.1230:
	global_load_ushort v3, v[0:1], off
	s_mov_b64 s[0:1], 0
	s_mov_b64 s[6:7], -1
	s_waitcnt vmcnt(0)
	v_lshlrev_b32_e32 v3, 16, v3
	v_cvt_f64_f32_e32 v[16:17], v3
	s_branch .LBB9_1235
.LBB9_1231:
	s_mov_b64 s[2:3], -1
                                        ; implicit-def: $vgpr16_vgpr17
	s_branch .LBB9_1236
.LBB9_1232:
	s_or_saveexec_b64 s[6:7], s[6:7]
	v_pk_mov_b32 v[16:17], s[4:5], s[4:5] op_sel:[0,1]
	s_xor_b64 exec, exec, s[6:7]
	s_cbranch_execz .LBB9_1214
.LBB9_1233:
	v_cmp_ne_u16_e32 vcc, 0, v3
	s_andn2_b64 s[2:3], s[2:3], exec
	s_and_b64 s[4:5], vcc, exec
	v_pk_mov_b32 v[16:17], 0, 0
	s_or_b64 s[2:3], s[2:3], s[4:5]
	s_or_b64 exec, exec, s[6:7]
	s_and_saveexec_b64 s[4:5], s[2:3]
	s_cbranch_execnz .LBB9_1215
	s_branch .LBB9_1216
.LBB9_1234:
	s_mov_b64 s[0:1], -1
                                        ; implicit-def: $vgpr16_vgpr17
.LBB9_1235:
	s_mov_b64 s[2:3], 0
.LBB9_1236:
	s_and_b64 vcc, exec, s[2:3]
	s_cbranch_vccz .LBB9_1238
; %bb.1237:
	v_mov_b32_e32 v3, 11
	v_cmp_ne_u16_sdwa s[0:1], s19, v3 src0_sel:BYTE_0 src1_sel:DWORD
	s_mov_b64 s[4:5], -1
                                        ; implicit-def: $vgpr16_vgpr17
.LBB9_1238:
	s_and_b64 vcc, exec, s[0:1]
	s_mov_b64 s[2:3], s[28:29]
	s_cbranch_vccnz .LBB9_1303
; %bb.1239:
	s_andn2_b64 vcc, exec, s[4:5]
	s_cbranch_vccnz .LBB9_1241
.LBB9_1240:
	global_load_ubyte v3, v[0:1], off
	s_waitcnt vmcnt(1)
	v_mov_b32_e32 v5, 0x3ff00000
	v_mov_b32_e32 v16, 0
	s_mov_b64 s[6:7], -1
	s_waitcnt vmcnt(0)
	v_cmp_ne_u16_e32 vcc, 0, v3
	v_cndmask_b32_e32 v17, 0, v5, vcc
.LBB9_1241:
	s_branch .LBB9_1171
.LBB9_1242:
	v_mov_b32_e32 v3, 5
	v_cmp_lt_i16_sdwa s[0:1], s19, v3 src0_sel:BYTE_0 src1_sel:DWORD
	s_and_b64 vcc, exec, s[0:1]
	s_cbranch_vccnz .LBB9_1247
; %bb.1243:
	v_mov_b32_e32 v3, 8
	v_cmp_lt_i16_sdwa s[0:1], s19, v3 src0_sel:BYTE_0 src1_sel:DWORD
	s_and_b64 vcc, exec, s[0:1]
	s_cbranch_vccnz .LBB9_1248
; %bb.1244:
	;; [unrolled: 5-line block ×3, first 2 shown]
	v_cmp_gt_i16_sdwa s[0:1], s19, v3 src0_sel:BYTE_0 src1_sel:DWORD
	s_and_b64 vcc, exec, s[0:1]
	s_cbranch_vccz .LBB9_1250
; %bb.1246:
	global_load_dwordx2 v[16:17], v[0:1], off
	s_mov_b64 s[0:1], 0
	s_branch .LBB9_1251
.LBB9_1247:
                                        ; implicit-def: $vgpr16_vgpr17
	s_branch .LBB9_1268
.LBB9_1248:
                                        ; implicit-def: $vgpr16_vgpr17
	s_branch .LBB9_1257
.LBB9_1249:
	s_mov_b64 s[0:1], -1
                                        ; implicit-def: $vgpr16_vgpr17
	s_branch .LBB9_1254
.LBB9_1250:
	s_mov_b64 s[0:1], -1
                                        ; implicit-def: $vgpr16_vgpr17
.LBB9_1251:
	s_andn2_b64 vcc, exec, s[0:1]
	s_cbranch_vccnz .LBB9_1253
; %bb.1252:
	global_load_dword v3, v[0:1], off
	s_waitcnt vmcnt(0)
	v_cvt_f64_f32_e32 v[16:17], v3
.LBB9_1253:
	s_mov_b64 s[0:1], 0
.LBB9_1254:
	s_andn2_b64 vcc, exec, s[0:1]
	s_cbranch_vccnz .LBB9_1256
; %bb.1255:
	global_load_dword v3, v[0:1], off
	s_waitcnt vmcnt(0)
	v_cvt_f32_f16_e32 v3, v3
	v_cvt_f64_f32_e32 v[16:17], v3
.LBB9_1256:
	s_cbranch_execnz .LBB9_1267
.LBB9_1257:
	v_mov_b32_e32 v3, 6
	v_cmp_lt_i16_sdwa s[0:1], s19, v3 src0_sel:BYTE_0 src1_sel:DWORD
	s_and_b64 vcc, exec, s[0:1]
	s_cbranch_vccnz .LBB9_1260
; %bb.1258:
	v_cmp_gt_i16_sdwa s[0:1], s19, v3 src0_sel:BYTE_0 src1_sel:DWORD
	s_and_b64 vcc, exec, s[0:1]
	s_cbranch_vccz .LBB9_1261
; %bb.1259:
	global_load_dwordx2 v[16:17], v[0:1], off
	s_mov_b64 s[0:1], 0
	s_branch .LBB9_1262
.LBB9_1260:
	s_mov_b64 s[0:1], -1
                                        ; implicit-def: $vgpr16_vgpr17
	s_branch .LBB9_1265
.LBB9_1261:
	s_mov_b64 s[0:1], -1
                                        ; implicit-def: $vgpr16_vgpr17
.LBB9_1262:
	s_andn2_b64 vcc, exec, s[0:1]
	s_cbranch_vccnz .LBB9_1264
; %bb.1263:
	global_load_dword v3, v[0:1], off
	s_waitcnt vmcnt(0)
	v_cvt_f64_f32_e32 v[16:17], v3
.LBB9_1264:
	s_mov_b64 s[0:1], 0
.LBB9_1265:
	s_andn2_b64 vcc, exec, s[0:1]
	s_cbranch_vccnz .LBB9_1267
; %bb.1266:
	global_load_ushort v3, v[0:1], off
	s_waitcnt vmcnt(0)
	v_cvt_f32_f16_e32 v3, v3
	v_cvt_f64_f32_e32 v[16:17], v3
.LBB9_1267:
	s_cbranch_execnz .LBB9_1286
.LBB9_1268:
	v_mov_b32_e32 v3, 2
	v_cmp_lt_i16_sdwa s[0:1], s19, v3 src0_sel:BYTE_0 src1_sel:DWORD
	s_and_b64 vcc, exec, s[0:1]
	s_cbranch_vccnz .LBB9_1272
; %bb.1269:
	v_mov_b32_e32 v3, 3
	v_cmp_lt_i16_sdwa s[0:1], s19, v3 src0_sel:BYTE_0 src1_sel:DWORD
	s_and_b64 vcc, exec, s[0:1]
	s_cbranch_vccnz .LBB9_1273
; %bb.1270:
	v_cmp_gt_i16_sdwa s[0:1], s19, v3 src0_sel:BYTE_0 src1_sel:DWORD
	s_and_b64 vcc, exec, s[0:1]
	s_cbranch_vccz .LBB9_1274
; %bb.1271:
	global_load_dwordx2 v[16:17], v[0:1], off
	s_mov_b64 s[0:1], 0
	s_waitcnt vmcnt(0)
	v_cvt_f64_i32_e32 v[18:19], v17
	v_cvt_f64_u32_e32 v[16:17], v16
	v_ldexp_f64 v[18:19], v[18:19], 32
	v_add_f64 v[16:17], v[18:19], v[16:17]
	s_branch .LBB9_1275
.LBB9_1272:
                                        ; implicit-def: $vgpr16_vgpr17
	s_branch .LBB9_1281
.LBB9_1273:
	s_mov_b64 s[0:1], -1
                                        ; implicit-def: $vgpr16_vgpr17
	s_branch .LBB9_1278
.LBB9_1274:
	s_mov_b64 s[0:1], -1
                                        ; implicit-def: $vgpr16_vgpr17
.LBB9_1275:
	s_andn2_b64 vcc, exec, s[0:1]
	s_cbranch_vccnz .LBB9_1277
; %bb.1276:
	global_load_dword v3, v[0:1], off
	s_waitcnt vmcnt(0)
	v_cvt_f64_i32_e32 v[16:17], v3
.LBB9_1277:
	s_mov_b64 s[0:1], 0
.LBB9_1278:
	s_andn2_b64 vcc, exec, s[0:1]
	s_cbranch_vccnz .LBB9_1280
; %bb.1279:
	global_load_sshort v3, v[0:1], off
	s_waitcnt vmcnt(0)
	v_cvt_f64_i32_e32 v[16:17], v3
.LBB9_1280:
	s_cbranch_execnz .LBB9_1286
.LBB9_1281:
	v_mov_b32_e32 v3, 0
	v_cmp_gt_i16_sdwa s[0:1], s19, v3 src0_sel:BYTE_0 src1_sel:DWORD
	s_and_b64 vcc, exec, s[0:1]
	s_cbranch_vccz .LBB9_1283
; %bb.1282:
	global_load_sbyte v3, v[0:1], off
	s_mov_b64 s[0:1], 0
	s_waitcnt vmcnt(0)
	v_cvt_f64_i32_e32 v[16:17], v3
	s_branch .LBB9_1284
.LBB9_1283:
	s_mov_b64 s[0:1], -1
                                        ; implicit-def: $vgpr16_vgpr17
.LBB9_1284:
	s_andn2_b64 vcc, exec, s[0:1]
	s_cbranch_vccnz .LBB9_1286
; %bb.1285:
	global_load_ubyte v0, v[0:1], off
	s_waitcnt vmcnt(0)
	v_cvt_f64_u32_e32 v[16:17], v0
.LBB9_1286:
.LBB9_1287:
	s_mov_b32 s0, 0
	s_mov_b32 s1, 0x40200000
	s_waitcnt vmcnt(0)
	v_cmp_le_f64_e64 s[0:1], |v[16:17]|, s[0:1]
                                        ; implicit-def: $vgpr0_vgpr1
	s_and_saveexec_b64 s[4:5], s[0:1]
	s_xor_b64 s[0:1], exec, s[4:5]
	s_cbranch_execz .LBB9_1289
; %bb.1288:
	s_mov_b32 s4, 0x2134d0ef
	v_fma_f64 v[0:1], |v[16:17]|, 0.5, -2.0
	v_mov_b32_e32 v18, 0x977da589
	v_mov_b32_e32 v19, 0x3c833362
	s_mov_b32 s5, 0xbc545cb7
	v_fmac_f64_e32 v[18:19], s[4:5], v[0:1]
	v_mov_b32_e32 v20, 0x2134d0ef
	v_mov_b32_e32 v21, 0x3c545cb7
	s_mov_b32 s4, 0x721ebbb4
	v_fmac_f64_e32 v[20:21], v[0:1], v[18:19]
	s_mov_b32 s5, 0xbcb184eb
	v_add_f64 v[20:21], v[20:21], s[4:5]
	s_mov_b32 s4, 0x93f65eba
	v_fma_f64 v[18:19], v[0:1], v[20:21], -v[18:19]
	s_mov_b32 s5, 0x3cdee6d8
	v_add_f64 v[18:19], v[18:19], s[4:5]
	s_mov_b32 s4, 0xc297fbeb
	v_fma_f64 v[20:21], v[0:1], v[18:19], -v[20:21]
	;; [unrolled: 4-line block ×27, first 2 shown]
	s_mov_b32 s5, 0x3fe5a84e
	v_add_f64 v[0:1], v[0:1], s[4:5]
	s_mov_b32 s4, 0x652b82fe
	s_mov_b32 s5, 0x3ff71547
	v_mul_f64 v[20:21], |v[16:17]|, s[4:5]
	s_mov_b32 s4, 0xfefa39ef
	v_rndne_f64_e32 v[20:21], v[20:21]
	s_mov_b32 s5, 0xbfe62e42
	v_fma_f64 v[22:23], v[20:21], s[4:5], |v[16:17]|
	s_mov_b32 s4, 0x3b39803f
	s_mov_b32 s5, 0xbc7abc9e
	v_fmac_f64_e32 v[22:23], s[4:5], v[20:21]
	s_mov_b32 s4, 0x6a5dcb37
	v_mov_b32_e32 v24, 0xfca7ab0c
	v_mov_b32_e32 v25, 0x3e928af3
	s_mov_b32 s5, 0x3e5ade15
	v_fmac_f64_e32 v[24:25], s[4:5], v[22:23]
	v_mov_b32_e32 v26, 0x623fde64
	v_mov_b32_e32 v27, 0x3ec71dee
	v_fmac_f64_e32 v[26:27], v[22:23], v[24:25]
	v_mov_b32_e32 v24, 0x7c89e6b0
	v_mov_b32_e32 v25, 0x3efa0199
	;; [unrolled: 3-line block ×8, first 2 shown]
	v_fmac_f64_e32 v[24:25], v[22:23], v[26:27]
	v_fma_f64 v[24:25], v[22:23], v[24:25], 1.0
	s_mov_b32 s4, 0
	v_fma_f64 v[22:23], v[22:23], v[24:25], 1.0
	v_cvt_i32_f64_e32 v3, v[20:21]
	s_mov_b32 s5, 0x40900000
	v_ldexp_f64 v[20:21], v[22:23], v3
	v_mov_b32_e32 v3, 0x7ff00000
	v_cmp_ngt_f64_e64 vcc, |v[16:17]|, s[4:5]
	v_add_f64 v[0:1], v[0:1], -v[18:19]
	v_cndmask_b32_e32 v17, v3, v21, vcc
	v_cndmask_b32_e32 v16, 0, v20, vcc
	v_mul_f64 v[0:1], v[0:1], 0.5
	v_mul_f64 v[0:1], v[16:17], v[0:1]
                                        ; implicit-def: $vgpr16_vgpr17
.LBB9_1289:
	s_andn2_saveexec_b64 s[0:1], s[0:1]
	s_cbranch_execz .LBB9_1291
; %bb.1290:
	s_mov_b32 s4, 0
	v_and_b32_e32 v1, 0x7fffffff, v17
	v_mov_b32_e32 v0, v16
	s_mov_b32 s5, 0x40400000
	v_div_scale_f64 v[18:19], s[6:7], v[0:1], v[0:1], s[4:5]
	v_rcp_f64_e32 v[20:21], v[18:19]
	v_div_scale_f64 v[0:1], vcc, s[4:5], v[0:1], s[4:5]
	v_mov_b32_e32 v24, 0xfca7ab0c
	v_fma_f64 v[22:23], -v[18:19], v[20:21], 1.0
	v_fmac_f64_e32 v[20:21], v[20:21], v[22:23]
	v_fma_f64 v[22:23], -v[18:19], v[20:21], 1.0
	v_fmac_f64_e32 v[20:21], v[20:21], v[22:23]
	v_mul_f64 v[22:23], v[0:1], v[20:21]
	v_fma_f64 v[0:1], -v[18:19], v[22:23], v[0:1]
	v_div_fmas_f64 v[0:1], v[0:1], v[20:21], v[22:23]
	v_div_fixup_f64 v[0:1], v[0:1], |v[16:17]|, s[4:5]
	s_mov_b32 s4, 0x54ca8b19
	v_add_f64 v[0:1], v[0:1], -2.0
	v_mov_b32_e32 v18, 0x66119130
	v_mov_b32_e32 v19, 0xbc5646da
	s_mov_b32 s5, 0xbc60adb7
	v_fmac_f64_e32 v[18:19], s[4:5], v[0:1]
	v_mov_b32_e32 v20, 0x54ca8b19
	v_mov_b32_e32 v21, 0x3c60adb7
	s_mov_b32 s4, 0x12d98421
	v_fmac_f64_e32 v[20:21], v[0:1], v[18:19]
	s_mov_b32 s5, 0x3c89be18
	v_add_f64 v[20:21], v[20:21], s[4:5]
	s_mov_b32 s4, 0x76041cd
	v_fma_f64 v[18:19], v[0:1], v[20:21], -v[18:19]
	s_mov_b32 s5, 0x3c83f3dd
	v_add_f64 v[18:19], v[18:19], s[4:5]
	s_mov_b32 s4, 0xabd21fe4
	v_fma_f64 v[20:21], v[0:1], v[18:19], -v[20:21]
	;; [unrolled: 4-line block ×22, first 2 shown]
	s_mov_b32 s5, 0x3fe9be62
	v_add_f64 v[0:1], v[0:1], s[4:5]
	s_mov_b32 s4, 0x652b82fe
	s_mov_b32 s5, 0x3ff71547
	v_mul_f64 v[18:19], |v[16:17]|, s[4:5]
	s_mov_b32 s4, 0xfefa39ef
	v_rndne_f64_e32 v[18:19], v[18:19]
	s_mov_b32 s5, 0xbfe62e42
	v_fma_f64 v[22:23], v[18:19], s[4:5], |v[16:17]|
	s_mov_b32 s4, 0x3b39803f
	s_mov_b32 s5, 0xbc7abc9e
	v_fmac_f64_e32 v[22:23], s[4:5], v[18:19]
	s_mov_b32 s4, 0x6a5dcb37
	v_mov_b32_e32 v25, 0x3e928af3
	s_mov_b32 s5, 0x3e5ade15
	v_fmac_f64_e32 v[24:25], s[4:5], v[22:23]
	v_mov_b32_e32 v26, 0x623fde64
	v_mov_b32_e32 v27, 0x3ec71dee
	v_fmac_f64_e32 v[26:27], v[22:23], v[24:25]
	v_mov_b32_e32 v24, 0x7c89e6b0
	v_mov_b32_e32 v25, 0x3efa0199
	v_fmac_f64_e32 v[24:25], v[22:23], v[26:27]
	v_mov_b32_e32 v26, 0x14761f6e
	v_mov_b32_e32 v27, 0x3f2a01a0
	v_fmac_f64_e32 v[26:27], v[22:23], v[24:25]
	v_mov_b32_e32 v24, 0x1852b7b0
	v_mov_b32_e32 v25, 0x3f56c16c
	v_fmac_f64_e32 v[24:25], v[22:23], v[26:27]
	v_mov_b32_e32 v26, 0x11122322
	v_mov_b32_e32 v27, 0x3f811111
	v_fmac_f64_e32 v[26:27], v[22:23], v[24:25]
	v_mov_b32_e32 v24, 0x555502a1
	v_mov_b32_e32 v25, 0x3fa55555
	v_fmac_f64_e32 v[24:25], v[22:23], v[26:27]
	v_mov_b32_e32 v26, 0x55555511
	v_mov_b32_e32 v27, 0x3fc55555
	v_fmac_f64_e32 v[26:27], v[22:23], v[24:25]
	v_mov_b32_e32 v24, 11
	v_mov_b32_e32 v25, 0x3fe00000
	v_fmac_f64_e32 v[24:25], v[22:23], v[26:27]
	s_mov_b32 s4, 0
	v_fma_f64 v[24:25], v[22:23], v[24:25], 1.0
	s_mov_b32 s5, 0x40900000
	v_fma_f64 v[22:23], v[22:23], v[24:25], 1.0
	v_cvt_i32_f64_e32 v3, v[18:19]
	v_cmp_ngt_f64_e64 vcc, |v[16:17]|, s[4:5]
	s_mov_b32 s4, 0
	v_ldexp_f64 v[18:19], v[22:23], v3
	v_mov_b32_e32 v3, 0x7ff00000
	s_brev_b32 s5, 8
	v_cndmask_b32_e32 v19, v3, v19, vcc
	v_cndmask_b32_e32 v18, 0, v18, vcc
	v_cmp_lt_f64_e64 vcc, |v[16:17]|, s[4:5]
	v_cndmask_b32_e64 v3, 0, 1, vcc
	v_lshlrev_b32_e32 v3, 8, v3
	v_ldexp_f64 v[16:17], |v[16:17]|, v3
	v_rsq_f64_e32 v[22:23], v[16:17]
	v_add_f64 v[0:1], v[0:1], -v[20:21]
	v_mul_f64 v[0:1], v[0:1], 0.5
	v_mul_f64 v[0:1], v[18:19], v[0:1]
	v_mul_f64 v[18:19], v[16:17], v[22:23]
	v_mul_f64 v[20:21], v[22:23], 0.5
	v_fma_f64 v[22:23], -v[20:21], v[18:19], 0.5
	v_fmac_f64_e32 v[18:19], v[18:19], v[22:23]
	v_fma_f64 v[24:25], -v[18:19], v[18:19], v[16:17]
	v_fmac_f64_e32 v[20:21], v[20:21], v[22:23]
	v_fmac_f64_e32 v[18:19], v[24:25], v[20:21]
	v_fma_f64 v[22:23], -v[18:19], v[18:19], v[16:17]
	v_mov_b32_e32 v3, 0xffffff80
	v_fmac_f64_e32 v[18:19], v[22:23], v[20:21]
	v_cndmask_b32_e32 v3, 0, v3, vcc
	v_ldexp_f64 v[18:19], v[18:19], v3
	v_mov_b32_e32 v3, 0x260
	v_cmp_class_f64_e32 vcc, v[16:17], v3
	v_cndmask_b32_e32 v17, v19, v17, vcc
	v_cndmask_b32_e32 v16, v18, v16, vcc
	v_div_scale_f64 v[18:19], s[4:5], v[16:17], v[16:17], v[0:1]
	v_rcp_f64_e32 v[20:21], v[18:19]
	v_fma_f64 v[22:23], -v[18:19], v[20:21], 1.0
	v_fmac_f64_e32 v[20:21], v[20:21], v[22:23]
	v_fma_f64 v[22:23], -v[18:19], v[20:21], 1.0
	v_fmac_f64_e32 v[20:21], v[20:21], v[22:23]
	v_div_scale_f64 v[22:23], vcc, v[0:1], v[16:17], v[0:1]
	v_mul_f64 v[24:25], v[22:23], v[20:21]
	v_fma_f64 v[18:19], -v[18:19], v[24:25], v[22:23]
	s_nop 1
	v_div_fmas_f64 v[18:19], v[18:19], v[20:21], v[24:25]
	v_div_fixup_f64 v[0:1], v[18:19], v[16:17], v[0:1]
.LBB9_1291:
	s_or_b64 exec, exec, s[0:1]
	v_mov_b32_e32 v3, s11
	v_add_co_u32_e32 v4, vcc, s10, v4
	v_addc_co_u32_e32 v5, vcc, 0, v3, vcc
	v_mov_b32_e32 v3, 11
	v_cmp_lt_i16_sdwa s[0:1], s19, v3 src0_sel:BYTE_0 src1_sel:DWORD
	s_and_b64 vcc, exec, s[0:1]
	s_cbranch_vccnz .LBB9_1298
; %bb.1292:
	v_mov_b32_e32 v3, 25
	v_cmp_gt_i16_sdwa s[0:1], s19, v3 src0_sel:BYTE_0 src1_sel:DWORD
	s_mov_b64 s[4:5], 0
	s_and_b64 vcc, exec, s[0:1]
	s_cbranch_vccz .LBB9_1300
; %bb.1293:
	v_mov_b32_e32 v3, 28
	v_cmp_gt_i16_sdwa s[0:1], s19, v3 src0_sel:BYTE_0 src1_sel:DWORD
	s_and_b64 vcc, exec, s[0:1]
	s_cbranch_vccz .LBB9_1301
; %bb.1294:
	v_mov_b32_e32 v3, 43
	v_cmp_gt_i16_sdwa s[0:1], s19, v3 src0_sel:BYTE_0 src1_sel:DWORD
	;; [unrolled: 5-line block ×3, first 2 shown]
	s_and_b64 vcc, exec, s[0:1]
	s_cbranch_vccz .LBB9_1304
; %bb.1296:
	v_mov_b32_e32 v3, 46
	v_cmp_eq_u16_sdwa s[0:1], s19, v3 src0_sel:BYTE_0 src1_sel:DWORD
	s_mov_b64 s[12:13], 0
	s_and_b64 vcc, exec, s[0:1]
	s_cbranch_vccz .LBB9_1307
; %bb.1297:
	global_load_dword v3, v[4:5], off
	s_mov_b64 s[0:1], 0
	s_mov_b64 s[6:7], -1
	s_waitcnt vmcnt(0)
	v_lshlrev_b32_e32 v3, 16, v3
	v_cvt_f64_f32_e32 v[16:17], v3
	s_branch .LBB9_1308
.LBB9_1298:
	s_mov_b64 s[6:7], 0
                                        ; implicit-def: $vgpr16_vgpr17
	s_cbranch_execnz .LBB9_1373
.LBB9_1299:
	s_andn2_b64 vcc, exec, s[6:7]
	s_cbranch_vccnz .LBB9_1698
	s_branch .LBB9_1420
.LBB9_1300:
	s_mov_b64 s[6:7], 0
	s_mov_b64 s[0:1], 0
                                        ; implicit-def: $vgpr16_vgpr17
	s_cbranch_execnz .LBB9_1337
	s_branch .LBB9_1369
.LBB9_1301:
	s_mov_b64 s[12:13], -1
	s_mov_b64 s[6:7], 0
	s_mov_b64 s[0:1], 0
                                        ; implicit-def: $vgpr16_vgpr17
	s_branch .LBB9_1318
.LBB9_1302:
	s_mov_b64 s[12:13], -1
	s_mov_b64 s[6:7], 0
	s_mov_b64 s[0:1], 0
                                        ; implicit-def: $vgpr16_vgpr17
	s_branch .LBB9_1313
.LBB9_1303:
	s_or_b64 s[2:3], s[28:29], exec
	s_trap 2
                                        ; implicit-def: $vgpr16_vgpr17
	s_cbranch_execz .LBB9_1240
	s_branch .LBB9_1241
.LBB9_1304:
	s_mov_b64 s[12:13], -1
	s_mov_b64 s[6:7], 0
	s_mov_b64 s[0:1], 0
                                        ; implicit-def: $vgpr16_vgpr17
	s_branch .LBB9_1308
.LBB9_1305:
	s_or_saveexec_b64 s[16:17], s[16:17]
                                        ; implicit-def: $sgpr18
	s_xor_b64 exec, exec, s[16:17]
	s_cbranch_execz .LBB9_1027
.LBB9_1306:
	s_mov_b32 s18, 0x42800000
	v_add_f32_e64 v3, |v2|, s18
	v_and_b32_e32 v3, 0xff, v3
	v_cmp_ne_u32_e32 vcc, 0, v3
	s_andn2_b64 s[14:15], s[14:15], exec
	s_and_b64 s[20:21], vcc, exec
	s_mov_b32 s18, 0
	s_or_b64 s[14:15], s[14:15], s[20:21]
	s_or_b64 exec, exec, s[16:17]
	v_mov_b32_e32 v4, s18
	s_and_saveexec_b64 s[16:17], s[14:15]
	s_cbranch_execnz .LBB9_1028
	s_branch .LBB9_1029
.LBB9_1307:
	s_mov_b64 s[0:1], -1
                                        ; implicit-def: $vgpr16_vgpr17
	s_mov_b64 s[6:7], 0
.LBB9_1308:
	s_and_b64 vcc, exec, s[12:13]
	s_cbranch_vccz .LBB9_1312
; %bb.1309:
	v_mov_b32_e32 v3, 44
	v_cmp_eq_u16_sdwa s[0:1], s19, v3 src0_sel:BYTE_0 src1_sel:DWORD
	s_and_b64 vcc, exec, s[0:1]
	s_cbranch_vccz .LBB9_1311
; %bb.1310:
	global_load_ubyte v3, v[4:5], off
	s_movk_i32 s6, 0xff
	v_bfrev_b32_e32 v7, 4
	v_mov_b32_e32 v9, 0x7ff80000
	v_bfrev_b32_e32 v11, 28
	s_mov_b64 s[0:1], 0
	s_waitcnt vmcnt(0)
	v_lshlrev_b32_e32 v13, 23, v3
	v_cvt_f64_f32_e32 v[16:17], v13
	v_cmp_ne_u32_e32 vcc, s6, v3
	v_cndmask_b32_e32 v7, v7, v16, vcc
	v_cndmask_b32_e32 v9, v9, v17, vcc
	v_cmp_ne_u32_e32 vcc, 0, v3
	v_cndmask_b32_e32 v17, v11, v9, vcc
	v_cndmask_b32_e32 v16, 0, v7, vcc
	s_mov_b64 s[6:7], -1
	s_branch .LBB9_1312
.LBB9_1311:
	s_mov_b64 s[0:1], -1
                                        ; implicit-def: $vgpr16_vgpr17
.LBB9_1312:
	s_mov_b64 s[12:13], 0
.LBB9_1313:
	s_and_b64 vcc, exec, s[12:13]
	s_cbranch_vccz .LBB9_1317
; %bb.1314:
	v_mov_b32_e32 v3, 29
	v_cmp_eq_u16_sdwa s[0:1], s19, v3 src0_sel:BYTE_0 src1_sel:DWORD
	s_and_b64 vcc, exec, s[0:1]
	s_cbranch_vccz .LBB9_1316
; %bb.1315:
	global_load_dwordx2 v[16:17], v[4:5], off
	s_mov_b64 s[0:1], 0
	s_mov_b64 s[6:7], -1
	s_mov_b64 s[12:13], 0
	s_waitcnt vmcnt(0)
	v_cvt_f64_u32_e32 v[18:19], v17
	v_cvt_f64_u32_e32 v[16:17], v16
	v_ldexp_f64 v[18:19], v[18:19], 32
	v_add_f64 v[16:17], v[18:19], v[16:17]
	s_branch .LBB9_1318
.LBB9_1316:
	s_mov_b64 s[0:1], -1
                                        ; implicit-def: $vgpr16_vgpr17
.LBB9_1317:
	s_mov_b64 s[12:13], 0
.LBB9_1318:
	s_and_b64 vcc, exec, s[12:13]
	s_cbranch_vccz .LBB9_1336
; %bb.1319:
	v_mov_b32_e32 v3, 27
	v_cmp_lt_i16_sdwa s[6:7], s19, v3 src0_sel:BYTE_0 src1_sel:DWORD
	s_and_b64 vcc, exec, s[6:7]
	s_cbranch_vccnz .LBB9_1322
; %bb.1320:
	v_cmp_gt_i16_sdwa s[6:7], s19, v3 src0_sel:BYTE_0 src1_sel:DWORD
	s_and_b64 vcc, exec, s[6:7]
	s_cbranch_vccz .LBB9_1323
; %bb.1321:
	global_load_dword v3, v[4:5], off
	s_mov_b64 s[6:7], 0
	s_waitcnt vmcnt(0)
	v_cvt_f64_u32_e32 v[16:17], v3
	s_branch .LBB9_1324
.LBB9_1322:
	s_mov_b64 s[6:7], -1
                                        ; implicit-def: $vgpr16_vgpr17
	s_branch .LBB9_1327
.LBB9_1323:
	s_mov_b64 s[6:7], -1
                                        ; implicit-def: $vgpr16_vgpr17
.LBB9_1324:
	s_andn2_b64 vcc, exec, s[6:7]
	s_cbranch_vccnz .LBB9_1326
; %bb.1325:
	global_load_ushort v3, v[4:5], off
	s_waitcnt vmcnt(0)
	v_cvt_f64_u32_e32 v[16:17], v3
.LBB9_1326:
	s_mov_b64 s[6:7], 0
.LBB9_1327:
	s_andn2_b64 vcc, exec, s[6:7]
	s_cbranch_vccnz .LBB9_1335
; %bb.1328:
	global_load_ubyte v3, v[4:5], off
	s_movk_i32 s6, 0x7f
                                        ; implicit-def: $sgpr12_sgpr13
	s_waitcnt vmcnt(0)
	v_cmp_lt_i16_e32 vcc, s6, v3
	s_mov_b64 s[6:7], 0
	s_and_saveexec_b64 s[14:15], vcc
	s_xor_b64 s[14:15], exec, s[14:15]
	s_cbranch_execz .LBB9_1348
; %bb.1329:
	s_movk_i32 s6, 0x80
	v_cmp_eq_u16_e32 vcc, s6, v3
	s_mov_b64 s[16:17], -1
                                        ; implicit-def: $sgpr12_sgpr13
	s_and_saveexec_b64 s[6:7], vcc
; %bb.1330:
	s_mov_b32 s13, 0x7ff80000
	s_brev_b32 s12, 4
	s_xor_b64 s[16:17], exec, -1
; %bb.1331:
	s_or_b64 exec, exec, s[6:7]
	s_and_b64 s[6:7], s[16:17], exec
	s_or_saveexec_b64 s[14:15], s[14:15]
	v_pk_mov_b32 v[16:17], s[12:13], s[12:13] op_sel:[0,1]
	s_xor_b64 exec, exec, s[14:15]
	s_cbranch_execnz .LBB9_1349
.LBB9_1332:
	s_or_b64 exec, exec, s[14:15]
	s_and_saveexec_b64 s[12:13], s[6:7]
	s_cbranch_execz .LBB9_1334
.LBB9_1333:
	v_lshlrev_b32_e32 v7, 24, v3
	v_and_b32_e32 v3, 0xffff, v3
	v_and_b32_e32 v9, 7, v3
	v_ffbh_u32_e32 v13, v9
	v_min_u32_e32 v13, 32, v13
	v_subrev_u32_e32 v15, 28, v13
	v_bfe_u32 v11, v3, 3, 4
	v_lshlrev_b32_e32 v3, v15, v3
	v_sub_u32_e32 v13, 29, v13
	v_and_b32_e32 v3, 7, v3
	v_cmp_eq_u32_e32 vcc, 0, v11
	v_cndmask_b32_e32 v11, v11, v13, vcc
	v_cndmask_b32_e32 v3, v9, v3, vcc
	v_mov_b32_e32 v9, 0x3b800000
	v_lshlrev_b32_e32 v3, 20, v3
	v_and_b32_e32 v7, 0x80000000, v7
	v_lshl_add_u32 v9, v11, 23, v9
	v_or3_b32 v3, v7, v9, v3
	v_cvt_f64_f32_e32 v[16:17], v3
.LBB9_1334:
	s_or_b64 exec, exec, s[12:13]
.LBB9_1335:
	s_mov_b64 s[6:7], -1
.LBB9_1336:
	s_branch .LBB9_1369
.LBB9_1337:
	v_mov_b32_e32 v3, 22
	v_cmp_gt_i16_sdwa s[4:5], s19, v3 src0_sel:BYTE_0 src1_sel:DWORD
	s_and_b64 vcc, exec, s[4:5]
	s_cbranch_vccz .LBB9_1347
; %bb.1338:
	v_mov_b32_e32 v3, 24
	v_cmp_lt_i16_sdwa s[4:5], s19, v3 src0_sel:BYTE_0 src1_sel:DWORD
	s_and_b64 vcc, exec, s[4:5]
	s_cbranch_vccnz .LBB9_1350
; %bb.1339:
	v_cmp_gt_i16_sdwa s[4:5], s19, v3 src0_sel:BYTE_0 src1_sel:DWORD
	s_and_b64 vcc, exec, s[4:5]
	s_cbranch_vccz .LBB9_1351
; %bb.1340:
	global_load_ubyte v3, v[4:5], off
	s_movk_i32 s4, 0x7f
                                        ; implicit-def: $sgpr6_sgpr7
	s_waitcnt vmcnt(0)
	v_cmp_lt_i16_e32 vcc, s4, v3
	s_mov_b64 s[4:5], 0
	s_and_saveexec_b64 s[12:13], vcc
	s_xor_b64 s[12:13], exec, s[12:13]
	s_cbranch_execz .LBB9_1363
; %bb.1341:
	s_movk_i32 s4, 0x80
	v_cmp_eq_u16_e32 vcc, s4, v3
	s_mov_b64 s[14:15], -1
                                        ; implicit-def: $sgpr6_sgpr7
	s_and_saveexec_b64 s[4:5], vcc
; %bb.1342:
	s_mov_b32 s7, 0x7ff80000
	s_brev_b32 s6, 4
	s_xor_b64 s[14:15], exec, -1
; %bb.1343:
	s_or_b64 exec, exec, s[4:5]
	s_and_b64 s[4:5], s[14:15], exec
	s_or_saveexec_b64 s[12:13], s[12:13]
	v_pk_mov_b32 v[16:17], s[6:7], s[6:7] op_sel:[0,1]
	s_xor_b64 exec, exec, s[12:13]
	s_cbranch_execnz .LBB9_1364
.LBB9_1344:
	s_or_b64 exec, exec, s[12:13]
	s_and_saveexec_b64 s[6:7], s[4:5]
	s_cbranch_execz .LBB9_1346
.LBB9_1345:
	v_lshlrev_b32_e32 v7, 24, v3
	v_and_b32_e32 v3, 0xffff, v3
	v_and_b32_e32 v9, 3, v3
	v_ffbh_u32_e32 v13, v9
	v_min_u32_e32 v13, 32, v13
	v_subrev_u32_e32 v15, 29, v13
	v_bfe_u32 v11, v3, 2, 5
	v_lshlrev_b32_e32 v3, v15, v3
	v_sub_u32_e32 v13, 30, v13
	v_and_b32_e32 v3, 3, v3
	v_cmp_eq_u32_e32 vcc, 0, v11
	v_cndmask_b32_e32 v11, v11, v13, vcc
	v_cndmask_b32_e32 v3, v9, v3, vcc
	v_mov_b32_e32 v9, 0x37800000
	v_lshlrev_b32_e32 v3, 21, v3
	v_and_b32_e32 v7, 0x80000000, v7
	v_lshl_add_u32 v9, v11, 23, v9
	v_or3_b32 v3, v7, v9, v3
	v_cvt_f64_f32_e32 v[16:17], v3
.LBB9_1346:
	s_or_b64 exec, exec, s[6:7]
	s_mov_b64 s[4:5], 0
	s_branch .LBB9_1352
.LBB9_1347:
	s_mov_b64 s[4:5], -1
                                        ; implicit-def: $vgpr16_vgpr17
	s_branch .LBB9_1358
.LBB9_1348:
	s_or_saveexec_b64 s[14:15], s[14:15]
	v_pk_mov_b32 v[16:17], s[12:13], s[12:13] op_sel:[0,1]
	s_xor_b64 exec, exec, s[14:15]
	s_cbranch_execz .LBB9_1332
.LBB9_1349:
	v_cmp_ne_u16_e32 vcc, 0, v3
	s_andn2_b64 s[6:7], s[6:7], exec
	s_and_b64 s[12:13], vcc, exec
	v_pk_mov_b32 v[16:17], 0, 0
	s_or_b64 s[6:7], s[6:7], s[12:13]
	s_or_b64 exec, exec, s[14:15]
	s_and_saveexec_b64 s[12:13], s[6:7]
	s_cbranch_execnz .LBB9_1333
	s_branch .LBB9_1334
.LBB9_1350:
	s_mov_b64 s[4:5], -1
                                        ; implicit-def: $vgpr16_vgpr17
	s_branch .LBB9_1355
.LBB9_1351:
	s_mov_b64 s[4:5], -1
                                        ; implicit-def: $vgpr16_vgpr17
.LBB9_1352:
	s_and_b64 vcc, exec, s[4:5]
	s_cbranch_vccz .LBB9_1354
; %bb.1353:
	global_load_ubyte v3, v[4:5], off
	s_mov_b32 s4, 0x7f800000
	s_waitcnt vmcnt(0)
	v_lshlrev_b32_e32 v3, 24, v3
	v_and_b32_e32 v7, 0x7f000000, v3
	v_ffbh_u32_e32 v9, v7
	v_min_u32_e32 v9, 32, v9
	v_sub_u32_e64 v9, v9, 4 clamp
	v_lshlrev_b32_e32 v13, v9, v7
	v_lshlrev_b32_e32 v9, 23, v9
	v_lshrrev_b32_e32 v13, 4, v13
	v_add_u32_e32 v11, 0x1000000, v7
	v_sub_u32_e32 v9, v13, v9
	v_ashrrev_i32_e32 v11, 8, v11
	v_add_u32_e32 v9, 0x3c000000, v9
	v_and_or_b32 v9, v11, s4, v9
	v_cmp_ne_u32_e32 vcc, 0, v7
	v_cndmask_b32_e32 v7, 0, v9, vcc
	s_brev_b32 s4, 1
	v_and_or_b32 v3, v3, s4, v7
	v_cvt_f64_f32_e32 v[16:17], v3
.LBB9_1354:
	s_mov_b64 s[4:5], 0
.LBB9_1355:
	s_andn2_b64 vcc, exec, s[4:5]
	s_cbranch_vccnz .LBB9_1357
; %bb.1356:
	global_load_ubyte v3, v[4:5], off
	s_movk_i32 s4, 0x7f00
	s_brev_b32 s5, 16
	s_waitcnt vmcnt(0)
	v_lshlrev_b16_e32 v7, 8, v3
	v_lshlrev_b32_e32 v3, 25, v3
	v_lshrrev_b32_e32 v9, 4, v3
	v_and_or_b32 v11, v7, s4, 0.5
	v_or_b32_e32 v9, 0x70000000, v9
	v_add_f32_e32 v11, -0.5, v11
	v_mul_f32_e32 v9, 0x7800000, v9
	v_cmp_gt_u32_e32 vcc, s5, v3
	v_bfe_i32 v7, v7, 0, 16
	v_cndmask_b32_e32 v3, v9, v11, vcc
	s_brev_b32 s4, 1
	v_and_or_b32 v3, v7, s4, v3
	v_cvt_f64_f32_e32 v[16:17], v3
.LBB9_1357:
	s_mov_b64 s[4:5], 0
	s_mov_b64 s[6:7], -1
.LBB9_1358:
	s_andn2_b64 vcc, exec, s[4:5]
	s_mov_b64 s[4:5], 0
	s_cbranch_vccnz .LBB9_1369
; %bb.1359:
	v_mov_b32_e32 v3, 14
	v_cmp_gt_i16_sdwa s[4:5], s19, v3 src0_sel:BYTE_0 src1_sel:DWORD
	s_and_b64 vcc, exec, s[4:5]
	s_cbranch_vccz .LBB9_1362
; %bb.1360:
	v_mov_b32_e32 v3, 15
	v_cmp_eq_u16_sdwa s[0:1], s19, v3 src0_sel:BYTE_0 src1_sel:DWORD
	s_and_b64 vcc, exec, s[0:1]
	s_cbranch_vccz .LBB9_1365
; %bb.1361:
	global_load_ushort v3, v[4:5], off
	s_mov_b64 s[0:1], 0
	s_mov_b64 s[6:7], -1
	s_waitcnt vmcnt(0)
	v_lshlrev_b32_e32 v3, 16, v3
	v_cvt_f64_f32_e32 v[16:17], v3
	s_branch .LBB9_1366
.LBB9_1362:
	s_mov_b64 s[12:13], -1
                                        ; implicit-def: $vgpr16_vgpr17
	s_branch .LBB9_1367
.LBB9_1363:
	s_or_saveexec_b64 s[12:13], s[12:13]
	v_pk_mov_b32 v[16:17], s[6:7], s[6:7] op_sel:[0,1]
	s_xor_b64 exec, exec, s[12:13]
	s_cbranch_execz .LBB9_1344
.LBB9_1364:
	v_cmp_ne_u16_e32 vcc, 0, v3
	s_andn2_b64 s[4:5], s[4:5], exec
	s_and_b64 s[6:7], vcc, exec
	v_pk_mov_b32 v[16:17], 0, 0
	s_or_b64 s[4:5], s[4:5], s[6:7]
	s_or_b64 exec, exec, s[12:13]
	s_and_saveexec_b64 s[6:7], s[4:5]
	s_cbranch_execnz .LBB9_1345
	s_branch .LBB9_1346
.LBB9_1365:
	s_mov_b64 s[0:1], -1
                                        ; implicit-def: $vgpr16_vgpr17
.LBB9_1366:
	s_mov_b64 s[12:13], 0
.LBB9_1367:
	s_mov_b64 s[4:5], 0
	s_and_b64 vcc, exec, s[12:13]
	s_cbranch_vccz .LBB9_1369
; %bb.1368:
	v_mov_b32_e32 v3, 11
	v_cmp_ne_u16_sdwa s[0:1], s19, v3 src0_sel:BYTE_0 src1_sel:DWORD
	s_mov_b64 s[4:5], -1
                                        ; implicit-def: $vgpr16_vgpr17
.LBB9_1369:
	s_and_b64 vcc, exec, s[0:1]
	s_cbranch_vccnz .LBB9_1436
; %bb.1370:
	s_andn2_b64 vcc, exec, s[4:5]
	s_cbranch_vccnz .LBB9_1372
.LBB9_1371:
	global_load_ubyte v3, v[4:5], off
	v_mov_b32_e32 v7, 0x3ff00000
	v_mov_b32_e32 v16, 0
	s_mov_b64 s[6:7], -1
	s_waitcnt vmcnt(0)
	v_cmp_ne_u16_e32 vcc, 0, v3
	v_cndmask_b32_e32 v17, 0, v7, vcc
.LBB9_1372:
	s_branch .LBB9_1299
.LBB9_1373:
	v_mov_b32_e32 v3, 5
	v_cmp_lt_i16_sdwa s[0:1], s19, v3 src0_sel:BYTE_0 src1_sel:DWORD
	s_and_b64 vcc, exec, s[0:1]
	s_cbranch_vccnz .LBB9_1378
; %bb.1374:
	v_mov_b32_e32 v3, 8
	v_cmp_lt_i16_sdwa s[0:1], s19, v3 src0_sel:BYTE_0 src1_sel:DWORD
	s_and_b64 vcc, exec, s[0:1]
	s_cbranch_vccnz .LBB9_1379
; %bb.1375:
	;; [unrolled: 5-line block ×3, first 2 shown]
	v_cmp_gt_i16_sdwa s[0:1], s19, v3 src0_sel:BYTE_0 src1_sel:DWORD
	s_and_b64 vcc, exec, s[0:1]
	s_cbranch_vccz .LBB9_1381
; %bb.1377:
	global_load_dwordx2 v[16:17], v[4:5], off
	s_mov_b64 s[0:1], 0
	s_branch .LBB9_1382
.LBB9_1378:
                                        ; implicit-def: $vgpr16_vgpr17
	s_branch .LBB9_1400
.LBB9_1379:
	s_mov_b64 s[0:1], -1
                                        ; implicit-def: $vgpr16_vgpr17
	s_branch .LBB9_1388
.LBB9_1380:
	s_mov_b64 s[0:1], -1
                                        ; implicit-def: $vgpr16_vgpr17
	s_branch .LBB9_1385
.LBB9_1381:
	s_mov_b64 s[0:1], -1
                                        ; implicit-def: $vgpr16_vgpr17
.LBB9_1382:
	s_andn2_b64 vcc, exec, s[0:1]
	s_cbranch_vccnz .LBB9_1384
; %bb.1383:
	global_load_dword v3, v[4:5], off
	s_waitcnt vmcnt(0)
	v_cvt_f64_f32_e32 v[16:17], v3
.LBB9_1384:
	s_mov_b64 s[0:1], 0
.LBB9_1385:
	s_andn2_b64 vcc, exec, s[0:1]
	s_cbranch_vccnz .LBB9_1387
; %bb.1386:
	global_load_dword v3, v[4:5], off
	s_waitcnt vmcnt(0)
	v_cvt_f32_f16_e32 v3, v3
	v_cvt_f64_f32_e32 v[16:17], v3
.LBB9_1387:
	s_mov_b64 s[0:1], 0
.LBB9_1388:
	s_andn2_b64 vcc, exec, s[0:1]
	s_cbranch_vccnz .LBB9_1399
; %bb.1389:
	v_mov_b32_e32 v3, 6
	v_cmp_lt_i16_sdwa s[0:1], s19, v3 src0_sel:BYTE_0 src1_sel:DWORD
	s_and_b64 vcc, exec, s[0:1]
	s_cbranch_vccnz .LBB9_1392
; %bb.1390:
	v_cmp_gt_i16_sdwa s[0:1], s19, v3 src0_sel:BYTE_0 src1_sel:DWORD
	s_and_b64 vcc, exec, s[0:1]
	s_cbranch_vccz .LBB9_1393
; %bb.1391:
	global_load_dwordx2 v[16:17], v[4:5], off
	s_mov_b64 s[0:1], 0
	s_branch .LBB9_1394
.LBB9_1392:
	s_mov_b64 s[0:1], -1
                                        ; implicit-def: $vgpr16_vgpr17
	s_branch .LBB9_1397
.LBB9_1393:
	s_mov_b64 s[0:1], -1
                                        ; implicit-def: $vgpr16_vgpr17
.LBB9_1394:
	s_andn2_b64 vcc, exec, s[0:1]
	s_cbranch_vccnz .LBB9_1396
; %bb.1395:
	global_load_dword v3, v[4:5], off
	s_waitcnt vmcnt(0)
	v_cvt_f64_f32_e32 v[16:17], v3
.LBB9_1396:
	s_mov_b64 s[0:1], 0
.LBB9_1397:
	s_andn2_b64 vcc, exec, s[0:1]
	s_cbranch_vccnz .LBB9_1399
; %bb.1398:
	global_load_ushort v3, v[4:5], off
	s_waitcnt vmcnt(0)
	v_cvt_f32_f16_e32 v3, v3
	v_cvt_f64_f32_e32 v[16:17], v3
.LBB9_1399:
	s_cbranch_execnz .LBB9_1419
.LBB9_1400:
	v_mov_b32_e32 v3, 2
	v_cmp_lt_i16_sdwa s[0:1], s19, v3 src0_sel:BYTE_0 src1_sel:DWORD
	s_and_b64 vcc, exec, s[0:1]
	s_cbranch_vccnz .LBB9_1404
; %bb.1401:
	v_mov_b32_e32 v3, 3
	v_cmp_lt_i16_sdwa s[0:1], s19, v3 src0_sel:BYTE_0 src1_sel:DWORD
	s_and_b64 vcc, exec, s[0:1]
	s_cbranch_vccnz .LBB9_1405
; %bb.1402:
	v_cmp_gt_i16_sdwa s[0:1], s19, v3 src0_sel:BYTE_0 src1_sel:DWORD
	s_and_b64 vcc, exec, s[0:1]
	s_cbranch_vccz .LBB9_1406
; %bb.1403:
	global_load_dwordx2 v[16:17], v[4:5], off
	s_mov_b64 s[0:1], 0
	s_waitcnt vmcnt(0)
	v_cvt_f64_i32_e32 v[18:19], v17
	v_cvt_f64_u32_e32 v[16:17], v16
	v_ldexp_f64 v[18:19], v[18:19], 32
	v_add_f64 v[16:17], v[18:19], v[16:17]
	s_branch .LBB9_1407
.LBB9_1404:
	s_mov_b64 s[0:1], -1
                                        ; implicit-def: $vgpr16_vgpr17
	s_branch .LBB9_1413
.LBB9_1405:
	s_mov_b64 s[0:1], -1
                                        ; implicit-def: $vgpr16_vgpr17
	s_branch .LBB9_1410
.LBB9_1406:
	s_mov_b64 s[0:1], -1
                                        ; implicit-def: $vgpr16_vgpr17
.LBB9_1407:
	s_andn2_b64 vcc, exec, s[0:1]
	s_cbranch_vccnz .LBB9_1409
; %bb.1408:
	global_load_dword v3, v[4:5], off
	s_waitcnt vmcnt(0)
	v_cvt_f64_i32_e32 v[16:17], v3
.LBB9_1409:
	s_mov_b64 s[0:1], 0
.LBB9_1410:
	s_andn2_b64 vcc, exec, s[0:1]
	s_cbranch_vccnz .LBB9_1412
; %bb.1411:
	global_load_sshort v3, v[4:5], off
	s_waitcnt vmcnt(0)
	v_cvt_f64_i32_e32 v[16:17], v3
.LBB9_1412:
	s_mov_b64 s[0:1], 0
.LBB9_1413:
	s_andn2_b64 vcc, exec, s[0:1]
	s_cbranch_vccnz .LBB9_1419
; %bb.1414:
	v_mov_b32_e32 v3, 0
	v_cmp_gt_i16_sdwa s[0:1], s19, v3 src0_sel:BYTE_0 src1_sel:DWORD
	s_and_b64 vcc, exec, s[0:1]
	s_cbranch_vccz .LBB9_1416
; %bb.1415:
	global_load_sbyte v3, v[4:5], off
	s_mov_b64 s[0:1], 0
	s_waitcnt vmcnt(0)
	v_cvt_f64_i32_e32 v[16:17], v3
	s_branch .LBB9_1417
.LBB9_1416:
	s_mov_b64 s[0:1], -1
                                        ; implicit-def: $vgpr16_vgpr17
.LBB9_1417:
	s_andn2_b64 vcc, exec, s[0:1]
	s_cbranch_vccnz .LBB9_1419
; %bb.1418:
	global_load_ubyte v3, v[4:5], off
	s_waitcnt vmcnt(0)
	v_cvt_f64_u32_e32 v[16:17], v3
.LBB9_1419:
.LBB9_1420:
	s_mov_b32 s0, 0
	s_mov_b32 s1, 0x40200000
	s_waitcnt vmcnt(0)
	v_cmp_le_f64_e64 s[0:1], |v[16:17]|, s[0:1]
                                        ; implicit-def: $vgpr4_vgpr5
	s_and_saveexec_b64 s[4:5], s[0:1]
	s_xor_b64 s[0:1], exec, s[4:5]
	s_cbranch_execz .LBB9_1422
; %bb.1421:
	s_mov_b32 s4, 0x2134d0ef
	v_fma_f64 v[4:5], |v[16:17]|, 0.5, -2.0
	v_mov_b32_e32 v18, 0x977da589
	v_mov_b32_e32 v19, 0x3c833362
	s_mov_b32 s5, 0xbc545cb7
	v_fmac_f64_e32 v[18:19], s[4:5], v[4:5]
	v_mov_b32_e32 v20, 0x2134d0ef
	v_mov_b32_e32 v21, 0x3c545cb7
	s_mov_b32 s4, 0x721ebbb4
	v_fmac_f64_e32 v[20:21], v[4:5], v[18:19]
	s_mov_b32 s5, 0xbcb184eb
	v_add_f64 v[20:21], v[20:21], s[4:5]
	s_mov_b32 s4, 0x93f65eba
	v_fma_f64 v[18:19], v[4:5], v[20:21], -v[18:19]
	s_mov_b32 s5, 0x3cdee6d8
	v_add_f64 v[18:19], v[18:19], s[4:5]
	s_mov_b32 s4, 0xc297fbeb
	v_fma_f64 v[20:21], v[4:5], v[18:19], -v[20:21]
	;; [unrolled: 4-line block ×27, first 2 shown]
	s_mov_b32 s5, 0x3fe5a84e
	v_add_f64 v[4:5], v[4:5], s[4:5]
	s_mov_b32 s4, 0x652b82fe
	s_mov_b32 s5, 0x3ff71547
	v_mul_f64 v[20:21], |v[16:17]|, s[4:5]
	s_mov_b32 s4, 0xfefa39ef
	v_rndne_f64_e32 v[20:21], v[20:21]
	s_mov_b32 s5, 0xbfe62e42
	v_fma_f64 v[22:23], v[20:21], s[4:5], |v[16:17]|
	s_mov_b32 s4, 0x3b39803f
	s_mov_b32 s5, 0xbc7abc9e
	v_fmac_f64_e32 v[22:23], s[4:5], v[20:21]
	s_mov_b32 s4, 0x6a5dcb37
	v_mov_b32_e32 v24, 0xfca7ab0c
	v_mov_b32_e32 v25, 0x3e928af3
	s_mov_b32 s5, 0x3e5ade15
	v_fmac_f64_e32 v[24:25], s[4:5], v[22:23]
	v_mov_b32_e32 v26, 0x623fde64
	v_mov_b32_e32 v27, 0x3ec71dee
	v_fmac_f64_e32 v[26:27], v[22:23], v[24:25]
	v_mov_b32_e32 v24, 0x7c89e6b0
	v_mov_b32_e32 v25, 0x3efa0199
	;; [unrolled: 3-line block ×8, first 2 shown]
	v_fmac_f64_e32 v[24:25], v[22:23], v[26:27]
	v_fma_f64 v[24:25], v[22:23], v[24:25], 1.0
	s_mov_b32 s4, 0
	v_fma_f64 v[22:23], v[22:23], v[24:25], 1.0
	v_cvt_i32_f64_e32 v3, v[20:21]
	s_mov_b32 s5, 0x40900000
	v_ldexp_f64 v[20:21], v[22:23], v3
	v_mov_b32_e32 v3, 0x7ff00000
	v_cmp_ngt_f64_e64 vcc, |v[16:17]|, s[4:5]
	v_add_f64 v[4:5], v[4:5], -v[18:19]
	v_cndmask_b32_e32 v17, v3, v21, vcc
	v_cndmask_b32_e32 v16, 0, v20, vcc
	v_mul_f64 v[4:5], v[4:5], 0.5
	v_mul_f64 v[4:5], v[16:17], v[4:5]
                                        ; implicit-def: $vgpr16_vgpr17
.LBB9_1422:
	s_andn2_saveexec_b64 s[0:1], s[0:1]
	s_cbranch_execz .LBB9_1424
; %bb.1423:
	s_mov_b32 s4, 0
	v_and_b32_e32 v5, 0x7fffffff, v17
	v_mov_b32_e32 v4, v16
	s_mov_b32 s5, 0x40400000
	v_div_scale_f64 v[18:19], s[6:7], v[4:5], v[4:5], s[4:5]
	v_rcp_f64_e32 v[20:21], v[18:19]
	v_div_scale_f64 v[4:5], vcc, s[4:5], v[4:5], s[4:5]
	v_mov_b32_e32 v24, 0xfca7ab0c
	v_fma_f64 v[22:23], -v[18:19], v[20:21], 1.0
	v_fmac_f64_e32 v[20:21], v[20:21], v[22:23]
	v_fma_f64 v[22:23], -v[18:19], v[20:21], 1.0
	v_fmac_f64_e32 v[20:21], v[20:21], v[22:23]
	v_mul_f64 v[22:23], v[4:5], v[20:21]
	v_fma_f64 v[4:5], -v[18:19], v[22:23], v[4:5]
	v_div_fmas_f64 v[4:5], v[4:5], v[20:21], v[22:23]
	v_div_fixup_f64 v[4:5], v[4:5], |v[16:17]|, s[4:5]
	s_mov_b32 s4, 0x54ca8b19
	v_add_f64 v[4:5], v[4:5], -2.0
	v_mov_b32_e32 v18, 0x66119130
	v_mov_b32_e32 v19, 0xbc5646da
	s_mov_b32 s5, 0xbc60adb7
	v_fmac_f64_e32 v[18:19], s[4:5], v[4:5]
	v_mov_b32_e32 v20, 0x54ca8b19
	v_mov_b32_e32 v21, 0x3c60adb7
	s_mov_b32 s4, 0x12d98421
	v_fmac_f64_e32 v[20:21], v[4:5], v[18:19]
	s_mov_b32 s5, 0x3c89be18
	v_add_f64 v[20:21], v[20:21], s[4:5]
	s_mov_b32 s4, 0x76041cd
	v_fma_f64 v[18:19], v[4:5], v[20:21], -v[18:19]
	s_mov_b32 s5, 0x3c83f3dd
	v_add_f64 v[18:19], v[18:19], s[4:5]
	s_mov_b32 s4, 0xabd21fe4
	v_fma_f64 v[20:21], v[4:5], v[18:19], -v[20:21]
	;; [unrolled: 4-line block ×22, first 2 shown]
	s_mov_b32 s5, 0x3fe9be62
	v_add_f64 v[4:5], v[4:5], s[4:5]
	s_mov_b32 s4, 0x652b82fe
	s_mov_b32 s5, 0x3ff71547
	v_mul_f64 v[18:19], |v[16:17]|, s[4:5]
	s_mov_b32 s4, 0xfefa39ef
	v_rndne_f64_e32 v[18:19], v[18:19]
	s_mov_b32 s5, 0xbfe62e42
	v_fma_f64 v[22:23], v[18:19], s[4:5], |v[16:17]|
	s_mov_b32 s4, 0x3b39803f
	s_mov_b32 s5, 0xbc7abc9e
	v_fmac_f64_e32 v[22:23], s[4:5], v[18:19]
	s_mov_b32 s4, 0x6a5dcb37
	v_mov_b32_e32 v25, 0x3e928af3
	s_mov_b32 s5, 0x3e5ade15
	v_fmac_f64_e32 v[24:25], s[4:5], v[22:23]
	v_mov_b32_e32 v26, 0x623fde64
	v_mov_b32_e32 v27, 0x3ec71dee
	v_fmac_f64_e32 v[26:27], v[22:23], v[24:25]
	v_mov_b32_e32 v24, 0x7c89e6b0
	v_mov_b32_e32 v25, 0x3efa0199
	;; [unrolled: 3-line block ×8, first 2 shown]
	v_fmac_f64_e32 v[24:25], v[22:23], v[26:27]
	s_mov_b32 s4, 0
	v_fma_f64 v[24:25], v[22:23], v[24:25], 1.0
	s_mov_b32 s5, 0x40900000
	v_fma_f64 v[22:23], v[22:23], v[24:25], 1.0
	v_cvt_i32_f64_e32 v3, v[18:19]
	v_cmp_ngt_f64_e64 vcc, |v[16:17]|, s[4:5]
	s_mov_b32 s4, 0
	v_ldexp_f64 v[18:19], v[22:23], v3
	v_mov_b32_e32 v3, 0x7ff00000
	s_brev_b32 s5, 8
	v_cndmask_b32_e32 v19, v3, v19, vcc
	v_cndmask_b32_e32 v18, 0, v18, vcc
	v_cmp_lt_f64_e64 vcc, |v[16:17]|, s[4:5]
	v_cndmask_b32_e64 v3, 0, 1, vcc
	v_lshlrev_b32_e32 v3, 8, v3
	v_ldexp_f64 v[16:17], |v[16:17]|, v3
	v_rsq_f64_e32 v[22:23], v[16:17]
	v_add_f64 v[4:5], v[4:5], -v[20:21]
	v_mul_f64 v[4:5], v[4:5], 0.5
	v_mul_f64 v[4:5], v[18:19], v[4:5]
	v_mul_f64 v[18:19], v[16:17], v[22:23]
	v_mul_f64 v[20:21], v[22:23], 0.5
	v_fma_f64 v[22:23], -v[20:21], v[18:19], 0.5
	v_fmac_f64_e32 v[18:19], v[18:19], v[22:23]
	v_fma_f64 v[24:25], -v[18:19], v[18:19], v[16:17]
	v_fmac_f64_e32 v[20:21], v[20:21], v[22:23]
	v_fmac_f64_e32 v[18:19], v[24:25], v[20:21]
	v_fma_f64 v[22:23], -v[18:19], v[18:19], v[16:17]
	v_mov_b32_e32 v3, 0xffffff80
	v_fmac_f64_e32 v[18:19], v[22:23], v[20:21]
	v_cndmask_b32_e32 v3, 0, v3, vcc
	v_ldexp_f64 v[18:19], v[18:19], v3
	v_mov_b32_e32 v3, 0x260
	v_cmp_class_f64_e32 vcc, v[16:17], v3
	v_cndmask_b32_e32 v17, v19, v17, vcc
	v_cndmask_b32_e32 v16, v18, v16, vcc
	v_div_scale_f64 v[18:19], s[4:5], v[16:17], v[16:17], v[4:5]
	v_rcp_f64_e32 v[20:21], v[18:19]
	v_fma_f64 v[22:23], -v[18:19], v[20:21], 1.0
	v_fmac_f64_e32 v[20:21], v[20:21], v[22:23]
	v_fma_f64 v[22:23], -v[18:19], v[20:21], 1.0
	v_fmac_f64_e32 v[20:21], v[20:21], v[22:23]
	v_div_scale_f64 v[22:23], vcc, v[4:5], v[16:17], v[4:5]
	v_mul_f64 v[24:25], v[22:23], v[20:21]
	v_fma_f64 v[18:19], -v[18:19], v[24:25], v[22:23]
	s_nop 1
	v_div_fmas_f64 v[18:19], v[18:19], v[20:21], v[24:25]
	v_div_fixup_f64 v[4:5], v[18:19], v[16:17], v[4:5]
.LBB9_1424:
	s_or_b64 exec, exec, s[0:1]
	v_mov_b32_e32 v3, s11
	v_add_co_u32_e32 v8, vcc, s10, v8
	v_addc_co_u32_e32 v9, vcc, 0, v3, vcc
	v_mov_b32_e32 v3, 11
	v_cmp_lt_i16_sdwa s[0:1], s19, v3 src0_sel:BYTE_0 src1_sel:DWORD
	s_and_b64 vcc, exec, s[0:1]
	s_cbranch_vccnz .LBB9_1431
; %bb.1425:
	v_mov_b32_e32 v3, 25
	v_cmp_gt_i16_sdwa s[0:1], s19, v3 src0_sel:BYTE_0 src1_sel:DWORD
	s_mov_b64 s[4:5], 0
	s_and_b64 vcc, exec, s[0:1]
	s_cbranch_vccz .LBB9_1433
; %bb.1426:
	v_mov_b32_e32 v3, 28
	v_cmp_gt_i16_sdwa s[0:1], s19, v3 src0_sel:BYTE_0 src1_sel:DWORD
	s_and_b64 vcc, exec, s[0:1]
	s_cbranch_vccz .LBB9_1434
; %bb.1427:
	v_mov_b32_e32 v3, 43
	v_cmp_gt_i16_sdwa s[0:1], s19, v3 src0_sel:BYTE_0 src1_sel:DWORD
	;; [unrolled: 5-line block ×3, first 2 shown]
	s_and_b64 vcc, exec, s[0:1]
	s_cbranch_vccz .LBB9_1437
; %bb.1429:
	v_mov_b32_e32 v3, 46
	v_cmp_eq_u16_sdwa s[0:1], s19, v3 src0_sel:BYTE_0 src1_sel:DWORD
	s_mov_b64 s[12:13], 0
	s_and_b64 vcc, exec, s[0:1]
	s_cbranch_vccz .LBB9_1438
; %bb.1430:
	global_load_dword v3, v[8:9], off
	s_mov_b64 s[0:1], 0
	s_mov_b64 s[6:7], -1
	s_waitcnt vmcnt(0)
	v_lshlrev_b32_e32 v3, 16, v3
	v_cvt_f64_f32_e32 v[16:17], v3
	s_branch .LBB9_1439
.LBB9_1431:
	s_mov_b64 s[6:7], 0
                                        ; implicit-def: $vgpr16_vgpr17
	s_cbranch_execnz .LBB9_1505
.LBB9_1432:
	s_andn2_b64 vcc, exec, s[6:7]
	s_cbranch_vccnz .LBB9_1698
	s_branch .LBB9_1553
.LBB9_1433:
	s_mov_b64 s[12:13], -1
	s_mov_b64 s[6:7], 0
	s_mov_b64 s[0:1], 0
                                        ; implicit-def: $vgpr16_vgpr17
	s_branch .LBB9_1468
.LBB9_1434:
	s_mov_b64 s[12:13], -1
	s_mov_b64 s[6:7], 0
	s_mov_b64 s[0:1], 0
                                        ; implicit-def: $vgpr16_vgpr17
	s_branch .LBB9_1449
.LBB9_1435:
	s_mov_b64 s[12:13], -1
	s_mov_b64 s[6:7], 0
	s_mov_b64 s[0:1], 0
                                        ; implicit-def: $vgpr16_vgpr17
	s_branch .LBB9_1444
.LBB9_1436:
	s_trap 2
	s_or_b64 s[2:3], s[2:3], exec
                                        ; implicit-def: $vgpr16_vgpr17
	s_cbranch_execz .LBB9_1371
	s_branch .LBB9_1372
.LBB9_1437:
	s_mov_b64 s[12:13], -1
	s_mov_b64 s[6:7], 0
	s_mov_b64 s[0:1], 0
                                        ; implicit-def: $vgpr16_vgpr17
	s_branch .LBB9_1439
.LBB9_1438:
	s_mov_b64 s[0:1], -1
                                        ; implicit-def: $vgpr16_vgpr17
	s_mov_b64 s[6:7], 0
.LBB9_1439:
	s_and_b64 vcc, exec, s[12:13]
	s_cbranch_vccz .LBB9_1443
; %bb.1440:
	v_mov_b32_e32 v3, 44
	v_cmp_eq_u16_sdwa s[0:1], s19, v3 src0_sel:BYTE_0 src1_sel:DWORD
	s_and_b64 vcc, exec, s[0:1]
	s_cbranch_vccz .LBB9_1442
; %bb.1441:
	global_load_ubyte v3, v[8:9], off
	s_movk_i32 s6, 0xff
	v_bfrev_b32_e32 v7, 4
	v_mov_b32_e32 v11, 0x7ff80000
	v_bfrev_b32_e32 v13, 28
	s_mov_b64 s[0:1], 0
	s_waitcnt vmcnt(0)
	v_lshlrev_b32_e32 v15, 23, v3
	v_cvt_f64_f32_e32 v[16:17], v15
	v_cmp_ne_u32_e32 vcc, s6, v3
	v_cndmask_b32_e32 v7, v7, v16, vcc
	v_cndmask_b32_e32 v11, v11, v17, vcc
	v_cmp_ne_u32_e32 vcc, 0, v3
	v_cndmask_b32_e32 v17, v13, v11, vcc
	v_cndmask_b32_e32 v16, 0, v7, vcc
	s_mov_b64 s[6:7], -1
	s_branch .LBB9_1443
.LBB9_1442:
	s_mov_b64 s[0:1], -1
                                        ; implicit-def: $vgpr16_vgpr17
.LBB9_1443:
	s_mov_b64 s[12:13], 0
.LBB9_1444:
	s_and_b64 vcc, exec, s[12:13]
	s_cbranch_vccz .LBB9_1448
; %bb.1445:
	v_mov_b32_e32 v3, 29
	v_cmp_eq_u16_sdwa s[0:1], s19, v3 src0_sel:BYTE_0 src1_sel:DWORD
	s_and_b64 vcc, exec, s[0:1]
	s_cbranch_vccz .LBB9_1447
; %bb.1446:
	global_load_dwordx2 v[16:17], v[8:9], off
	s_mov_b64 s[0:1], 0
	s_mov_b64 s[6:7], -1
	s_mov_b64 s[12:13], 0
	s_waitcnt vmcnt(0)
	v_cvt_f64_u32_e32 v[18:19], v17
	v_cvt_f64_u32_e32 v[16:17], v16
	v_ldexp_f64 v[18:19], v[18:19], 32
	v_add_f64 v[16:17], v[18:19], v[16:17]
	s_branch .LBB9_1449
.LBB9_1447:
	s_mov_b64 s[0:1], -1
                                        ; implicit-def: $vgpr16_vgpr17
.LBB9_1448:
	s_mov_b64 s[12:13], 0
.LBB9_1449:
	s_and_b64 vcc, exec, s[12:13]
	s_cbranch_vccz .LBB9_1467
; %bb.1450:
	v_mov_b32_e32 v3, 27
	v_cmp_lt_i16_sdwa s[6:7], s19, v3 src0_sel:BYTE_0 src1_sel:DWORD
	s_and_b64 vcc, exec, s[6:7]
	s_cbranch_vccnz .LBB9_1453
; %bb.1451:
	v_cmp_gt_i16_sdwa s[6:7], s19, v3 src0_sel:BYTE_0 src1_sel:DWORD
	s_and_b64 vcc, exec, s[6:7]
	s_cbranch_vccz .LBB9_1454
; %bb.1452:
	global_load_dword v3, v[8:9], off
	s_mov_b64 s[6:7], 0
	s_waitcnt vmcnt(0)
	v_cvt_f64_u32_e32 v[16:17], v3
	s_branch .LBB9_1455
.LBB9_1453:
	s_mov_b64 s[6:7], -1
                                        ; implicit-def: $vgpr16_vgpr17
	s_branch .LBB9_1458
.LBB9_1454:
	s_mov_b64 s[6:7], -1
                                        ; implicit-def: $vgpr16_vgpr17
.LBB9_1455:
	s_andn2_b64 vcc, exec, s[6:7]
	s_cbranch_vccnz .LBB9_1457
; %bb.1456:
	global_load_ushort v3, v[8:9], off
	s_waitcnt vmcnt(0)
	v_cvt_f64_u32_e32 v[16:17], v3
.LBB9_1457:
	s_mov_b64 s[6:7], 0
.LBB9_1458:
	s_andn2_b64 vcc, exec, s[6:7]
	s_cbranch_vccnz .LBB9_1466
; %bb.1459:
	global_load_ubyte v3, v[8:9], off
	s_movk_i32 s6, 0x7f
                                        ; implicit-def: $sgpr12_sgpr13
	s_waitcnt vmcnt(0)
	v_cmp_lt_i16_e32 vcc, s6, v3
	s_mov_b64 s[6:7], 0
	s_and_saveexec_b64 s[14:15], vcc
	s_xor_b64 s[14:15], exec, s[14:15]
	s_cbranch_execz .LBB9_1480
; %bb.1460:
	s_movk_i32 s6, 0x80
	v_cmp_eq_u16_e32 vcc, s6, v3
	s_mov_b64 s[16:17], -1
                                        ; implicit-def: $sgpr12_sgpr13
	s_and_saveexec_b64 s[6:7], vcc
; %bb.1461:
	s_mov_b32 s13, 0x7ff80000
	s_brev_b32 s12, 4
	s_xor_b64 s[16:17], exec, -1
; %bb.1462:
	s_or_b64 exec, exec, s[6:7]
	s_and_b64 s[6:7], s[16:17], exec
	s_or_saveexec_b64 s[14:15], s[14:15]
	v_pk_mov_b32 v[16:17], s[12:13], s[12:13] op_sel:[0,1]
	s_xor_b64 exec, exec, s[14:15]
	s_cbranch_execnz .LBB9_1481
.LBB9_1463:
	s_or_b64 exec, exec, s[14:15]
	s_and_saveexec_b64 s[12:13], s[6:7]
	s_cbranch_execz .LBB9_1465
.LBB9_1464:
	v_lshlrev_b32_e32 v7, 24, v3
	v_and_b32_e32 v3, 0xffff, v3
	v_and_b32_e32 v11, 7, v3
	v_ffbh_u32_e32 v15, v11
	v_min_u32_e32 v15, 32, v15
	v_subrev_u32_e32 v16, 28, v15
	v_bfe_u32 v13, v3, 3, 4
	v_lshlrev_b32_e32 v3, v16, v3
	v_sub_u32_e32 v15, 29, v15
	v_and_b32_e32 v3, 7, v3
	v_cmp_eq_u32_e32 vcc, 0, v13
	v_cndmask_b32_e32 v13, v13, v15, vcc
	v_cndmask_b32_e32 v3, v11, v3, vcc
	v_mov_b32_e32 v11, 0x3b800000
	v_lshlrev_b32_e32 v3, 20, v3
	v_and_b32_e32 v7, 0x80000000, v7
	v_lshl_add_u32 v11, v13, 23, v11
	v_or3_b32 v3, v7, v11, v3
	v_cvt_f64_f32_e32 v[16:17], v3
.LBB9_1465:
	s_or_b64 exec, exec, s[12:13]
.LBB9_1466:
	s_mov_b64 s[6:7], -1
.LBB9_1467:
	s_mov_b64 s[12:13], 0
.LBB9_1468:
	s_and_b64 vcc, exec, s[12:13]
	s_cbranch_vccz .LBB9_1501
; %bb.1469:
	v_mov_b32_e32 v3, 22
	v_cmp_gt_i16_sdwa s[4:5], s19, v3 src0_sel:BYTE_0 src1_sel:DWORD
	s_and_b64 vcc, exec, s[4:5]
	s_cbranch_vccz .LBB9_1479
; %bb.1470:
	v_mov_b32_e32 v3, 24
	v_cmp_lt_i16_sdwa s[4:5], s19, v3 src0_sel:BYTE_0 src1_sel:DWORD
	s_and_b64 vcc, exec, s[4:5]
	s_cbranch_vccnz .LBB9_1482
; %bb.1471:
	v_cmp_gt_i16_sdwa s[4:5], s19, v3 src0_sel:BYTE_0 src1_sel:DWORD
	s_and_b64 vcc, exec, s[4:5]
	s_cbranch_vccz .LBB9_1483
; %bb.1472:
	global_load_ubyte v3, v[8:9], off
	s_movk_i32 s4, 0x7f
                                        ; implicit-def: $sgpr6_sgpr7
	s_waitcnt vmcnt(0)
	v_cmp_lt_i16_e32 vcc, s4, v3
	s_mov_b64 s[4:5], 0
	s_and_saveexec_b64 s[12:13], vcc
	s_xor_b64 s[12:13], exec, s[12:13]
	s_cbranch_execz .LBB9_1495
; %bb.1473:
	s_movk_i32 s4, 0x80
	v_cmp_eq_u16_e32 vcc, s4, v3
	s_mov_b64 s[14:15], -1
                                        ; implicit-def: $sgpr6_sgpr7
	s_and_saveexec_b64 s[4:5], vcc
; %bb.1474:
	s_mov_b32 s7, 0x7ff80000
	s_brev_b32 s6, 4
	s_xor_b64 s[14:15], exec, -1
; %bb.1475:
	s_or_b64 exec, exec, s[4:5]
	s_and_b64 s[4:5], s[14:15], exec
	s_or_saveexec_b64 s[12:13], s[12:13]
	v_pk_mov_b32 v[16:17], s[6:7], s[6:7] op_sel:[0,1]
	s_xor_b64 exec, exec, s[12:13]
	s_cbranch_execnz .LBB9_1496
.LBB9_1476:
	s_or_b64 exec, exec, s[12:13]
	s_and_saveexec_b64 s[6:7], s[4:5]
	s_cbranch_execz .LBB9_1478
.LBB9_1477:
	v_lshlrev_b32_e32 v7, 24, v3
	v_and_b32_e32 v3, 0xffff, v3
	v_and_b32_e32 v11, 3, v3
	v_ffbh_u32_e32 v15, v11
	v_min_u32_e32 v15, 32, v15
	v_subrev_u32_e32 v16, 29, v15
	v_bfe_u32 v13, v3, 2, 5
	v_lshlrev_b32_e32 v3, v16, v3
	v_sub_u32_e32 v15, 30, v15
	v_and_b32_e32 v3, 3, v3
	v_cmp_eq_u32_e32 vcc, 0, v13
	v_cndmask_b32_e32 v13, v13, v15, vcc
	v_cndmask_b32_e32 v3, v11, v3, vcc
	v_mov_b32_e32 v11, 0x37800000
	v_lshlrev_b32_e32 v3, 21, v3
	v_and_b32_e32 v7, 0x80000000, v7
	v_lshl_add_u32 v11, v13, 23, v11
	v_or3_b32 v3, v7, v11, v3
	v_cvt_f64_f32_e32 v[16:17], v3
.LBB9_1478:
	s_or_b64 exec, exec, s[6:7]
	s_mov_b64 s[4:5], 0
	s_branch .LBB9_1484
.LBB9_1479:
	s_mov_b64 s[4:5], -1
                                        ; implicit-def: $vgpr16_vgpr17
	s_branch .LBB9_1490
.LBB9_1480:
	s_or_saveexec_b64 s[14:15], s[14:15]
	v_pk_mov_b32 v[16:17], s[12:13], s[12:13] op_sel:[0,1]
	s_xor_b64 exec, exec, s[14:15]
	s_cbranch_execz .LBB9_1463
.LBB9_1481:
	v_cmp_ne_u16_e32 vcc, 0, v3
	s_andn2_b64 s[6:7], s[6:7], exec
	s_and_b64 s[12:13], vcc, exec
	v_pk_mov_b32 v[16:17], 0, 0
	s_or_b64 s[6:7], s[6:7], s[12:13]
	s_or_b64 exec, exec, s[14:15]
	s_and_saveexec_b64 s[12:13], s[6:7]
	s_cbranch_execnz .LBB9_1464
	s_branch .LBB9_1465
.LBB9_1482:
	s_mov_b64 s[4:5], -1
                                        ; implicit-def: $vgpr16_vgpr17
	s_branch .LBB9_1487
.LBB9_1483:
	s_mov_b64 s[4:5], -1
                                        ; implicit-def: $vgpr16_vgpr17
.LBB9_1484:
	s_and_b64 vcc, exec, s[4:5]
	s_cbranch_vccz .LBB9_1486
; %bb.1485:
	global_load_ubyte v3, v[8:9], off
	s_mov_b32 s4, 0x7f800000
	s_waitcnt vmcnt(0)
	v_lshlrev_b32_e32 v3, 24, v3
	v_and_b32_e32 v7, 0x7f000000, v3
	v_ffbh_u32_e32 v11, v7
	v_min_u32_e32 v11, 32, v11
	v_sub_u32_e64 v11, v11, 4 clamp
	v_lshlrev_b32_e32 v15, v11, v7
	v_lshlrev_b32_e32 v11, 23, v11
	v_lshrrev_b32_e32 v15, 4, v15
	v_add_u32_e32 v13, 0x1000000, v7
	v_sub_u32_e32 v11, v15, v11
	v_ashrrev_i32_e32 v13, 8, v13
	v_add_u32_e32 v11, 0x3c000000, v11
	v_and_or_b32 v11, v13, s4, v11
	v_cmp_ne_u32_e32 vcc, 0, v7
	v_cndmask_b32_e32 v7, 0, v11, vcc
	s_brev_b32 s4, 1
	v_and_or_b32 v3, v3, s4, v7
	v_cvt_f64_f32_e32 v[16:17], v3
.LBB9_1486:
	s_mov_b64 s[4:5], 0
.LBB9_1487:
	s_andn2_b64 vcc, exec, s[4:5]
	s_cbranch_vccnz .LBB9_1489
; %bb.1488:
	global_load_ubyte v3, v[8:9], off
	s_movk_i32 s4, 0x7f00
	s_brev_b32 s5, 16
	s_waitcnt vmcnt(0)
	v_lshlrev_b16_e32 v7, 8, v3
	v_lshlrev_b32_e32 v3, 25, v3
	v_lshrrev_b32_e32 v11, 4, v3
	v_and_or_b32 v13, v7, s4, 0.5
	v_or_b32_e32 v11, 0x70000000, v11
	v_add_f32_e32 v13, -0.5, v13
	v_mul_f32_e32 v11, 0x7800000, v11
	v_cmp_gt_u32_e32 vcc, s5, v3
	v_bfe_i32 v7, v7, 0, 16
	v_cndmask_b32_e32 v3, v11, v13, vcc
	s_brev_b32 s4, 1
	v_and_or_b32 v3, v7, s4, v3
	v_cvt_f64_f32_e32 v[16:17], v3
.LBB9_1489:
	s_mov_b64 s[4:5], 0
	s_mov_b64 s[6:7], -1
.LBB9_1490:
	s_andn2_b64 vcc, exec, s[4:5]
	s_mov_b64 s[4:5], 0
	s_cbranch_vccnz .LBB9_1501
; %bb.1491:
	v_mov_b32_e32 v3, 14
	v_cmp_gt_i16_sdwa s[4:5], s19, v3 src0_sel:BYTE_0 src1_sel:DWORD
	s_and_b64 vcc, exec, s[4:5]
	s_cbranch_vccz .LBB9_1494
; %bb.1492:
	v_mov_b32_e32 v3, 15
	v_cmp_eq_u16_sdwa s[0:1], s19, v3 src0_sel:BYTE_0 src1_sel:DWORD
	s_and_b64 vcc, exec, s[0:1]
	s_cbranch_vccz .LBB9_1497
; %bb.1493:
	global_load_ushort v3, v[8:9], off
	s_mov_b64 s[0:1], 0
	s_mov_b64 s[6:7], -1
	s_waitcnt vmcnt(0)
	v_lshlrev_b32_e32 v3, 16, v3
	v_cvt_f64_f32_e32 v[16:17], v3
	s_branch .LBB9_1498
.LBB9_1494:
	s_mov_b64 s[12:13], -1
                                        ; implicit-def: $vgpr16_vgpr17
	s_branch .LBB9_1499
.LBB9_1495:
	s_or_saveexec_b64 s[12:13], s[12:13]
	v_pk_mov_b32 v[16:17], s[6:7], s[6:7] op_sel:[0,1]
	s_xor_b64 exec, exec, s[12:13]
	s_cbranch_execz .LBB9_1476
.LBB9_1496:
	v_cmp_ne_u16_e32 vcc, 0, v3
	s_andn2_b64 s[4:5], s[4:5], exec
	s_and_b64 s[6:7], vcc, exec
	v_pk_mov_b32 v[16:17], 0, 0
	s_or_b64 s[4:5], s[4:5], s[6:7]
	s_or_b64 exec, exec, s[12:13]
	s_and_saveexec_b64 s[6:7], s[4:5]
	s_cbranch_execnz .LBB9_1477
	s_branch .LBB9_1478
.LBB9_1497:
	s_mov_b64 s[0:1], -1
                                        ; implicit-def: $vgpr16_vgpr17
.LBB9_1498:
	s_mov_b64 s[12:13], 0
.LBB9_1499:
	s_mov_b64 s[4:5], 0
	s_and_b64 vcc, exec, s[12:13]
	s_cbranch_vccz .LBB9_1501
; %bb.1500:
	v_mov_b32_e32 v3, 11
	v_cmp_ne_u16_sdwa s[0:1], s19, v3 src0_sel:BYTE_0 src1_sel:DWORD
	s_mov_b64 s[4:5], -1
                                        ; implicit-def: $vgpr16_vgpr17
.LBB9_1501:
	s_and_b64 vcc, exec, s[0:1]
	s_cbranch_vccnz .LBB9_1568
; %bb.1502:
	s_andn2_b64 vcc, exec, s[4:5]
	s_cbranch_vccnz .LBB9_1504
.LBB9_1503:
	global_load_ubyte v3, v[8:9], off
	v_mov_b32_e32 v7, 0x3ff00000
	v_mov_b32_e32 v16, 0
	s_mov_b64 s[6:7], -1
	s_waitcnt vmcnt(0)
	v_cmp_ne_u16_e32 vcc, 0, v3
	v_cndmask_b32_e32 v17, 0, v7, vcc
.LBB9_1504:
	s_branch .LBB9_1432
.LBB9_1505:
	v_mov_b32_e32 v3, 5
	v_cmp_lt_i16_sdwa s[0:1], s19, v3 src0_sel:BYTE_0 src1_sel:DWORD
	s_and_b64 vcc, exec, s[0:1]
	s_cbranch_vccnz .LBB9_1510
; %bb.1506:
	v_mov_b32_e32 v3, 8
	v_cmp_lt_i16_sdwa s[0:1], s19, v3 src0_sel:BYTE_0 src1_sel:DWORD
	s_and_b64 vcc, exec, s[0:1]
	s_cbranch_vccnz .LBB9_1511
; %bb.1507:
	;; [unrolled: 5-line block ×3, first 2 shown]
	v_cmp_gt_i16_sdwa s[0:1], s19, v3 src0_sel:BYTE_0 src1_sel:DWORD
	s_and_b64 vcc, exec, s[0:1]
	s_cbranch_vccz .LBB9_1513
; %bb.1509:
	global_load_dwordx2 v[16:17], v[8:9], off
	s_mov_b64 s[0:1], 0
	s_branch .LBB9_1514
.LBB9_1510:
	s_mov_b64 s[0:1], -1
                                        ; implicit-def: $vgpr16_vgpr17
	s_branch .LBB9_1532
.LBB9_1511:
	s_mov_b64 s[0:1], -1
                                        ; implicit-def: $vgpr16_vgpr17
	s_branch .LBB9_1520
.LBB9_1512:
	s_mov_b64 s[0:1], -1
                                        ; implicit-def: $vgpr16_vgpr17
	s_branch .LBB9_1517
.LBB9_1513:
	s_mov_b64 s[0:1], -1
                                        ; implicit-def: $vgpr16_vgpr17
.LBB9_1514:
	s_andn2_b64 vcc, exec, s[0:1]
	s_cbranch_vccnz .LBB9_1516
; %bb.1515:
	global_load_dword v3, v[8:9], off
	s_waitcnt vmcnt(0)
	v_cvt_f64_f32_e32 v[16:17], v3
.LBB9_1516:
	s_mov_b64 s[0:1], 0
.LBB9_1517:
	s_andn2_b64 vcc, exec, s[0:1]
	s_cbranch_vccnz .LBB9_1519
; %bb.1518:
	global_load_dword v3, v[8:9], off
	s_waitcnt vmcnt(0)
	v_cvt_f32_f16_e32 v3, v3
	v_cvt_f64_f32_e32 v[16:17], v3
.LBB9_1519:
	s_mov_b64 s[0:1], 0
.LBB9_1520:
	s_andn2_b64 vcc, exec, s[0:1]
	s_cbranch_vccnz .LBB9_1531
; %bb.1521:
	v_mov_b32_e32 v3, 6
	v_cmp_lt_i16_sdwa s[0:1], s19, v3 src0_sel:BYTE_0 src1_sel:DWORD
	s_and_b64 vcc, exec, s[0:1]
	s_cbranch_vccnz .LBB9_1524
; %bb.1522:
	v_cmp_gt_i16_sdwa s[0:1], s19, v3 src0_sel:BYTE_0 src1_sel:DWORD
	s_and_b64 vcc, exec, s[0:1]
	s_cbranch_vccz .LBB9_1525
; %bb.1523:
	global_load_dwordx2 v[16:17], v[8:9], off
	s_mov_b64 s[0:1], 0
	s_branch .LBB9_1526
.LBB9_1524:
	s_mov_b64 s[0:1], -1
                                        ; implicit-def: $vgpr16_vgpr17
	s_branch .LBB9_1529
.LBB9_1525:
	s_mov_b64 s[0:1], -1
                                        ; implicit-def: $vgpr16_vgpr17
.LBB9_1526:
	s_andn2_b64 vcc, exec, s[0:1]
	s_cbranch_vccnz .LBB9_1528
; %bb.1527:
	global_load_dword v3, v[8:9], off
	s_waitcnt vmcnt(0)
	v_cvt_f64_f32_e32 v[16:17], v3
.LBB9_1528:
	s_mov_b64 s[0:1], 0
.LBB9_1529:
	s_andn2_b64 vcc, exec, s[0:1]
	s_cbranch_vccnz .LBB9_1531
; %bb.1530:
	global_load_ushort v3, v[8:9], off
	s_waitcnt vmcnt(0)
	v_cvt_f32_f16_e32 v3, v3
	v_cvt_f64_f32_e32 v[16:17], v3
.LBB9_1531:
	s_mov_b64 s[0:1], 0
.LBB9_1532:
	s_andn2_b64 vcc, exec, s[0:1]
	s_cbranch_vccnz .LBB9_1552
; %bb.1533:
	v_mov_b32_e32 v3, 2
	v_cmp_lt_i16_sdwa s[0:1], s19, v3 src0_sel:BYTE_0 src1_sel:DWORD
	s_and_b64 vcc, exec, s[0:1]
	s_cbranch_vccnz .LBB9_1537
; %bb.1534:
	v_mov_b32_e32 v3, 3
	v_cmp_lt_i16_sdwa s[0:1], s19, v3 src0_sel:BYTE_0 src1_sel:DWORD
	s_and_b64 vcc, exec, s[0:1]
	s_cbranch_vccnz .LBB9_1538
; %bb.1535:
	v_cmp_gt_i16_sdwa s[0:1], s19, v3 src0_sel:BYTE_0 src1_sel:DWORD
	s_and_b64 vcc, exec, s[0:1]
	s_cbranch_vccz .LBB9_1539
; %bb.1536:
	global_load_dwordx2 v[16:17], v[8:9], off
	s_mov_b64 s[0:1], 0
	s_waitcnt vmcnt(0)
	v_cvt_f64_i32_e32 v[18:19], v17
	v_cvt_f64_u32_e32 v[16:17], v16
	v_ldexp_f64 v[18:19], v[18:19], 32
	v_add_f64 v[16:17], v[18:19], v[16:17]
	s_branch .LBB9_1540
.LBB9_1537:
	s_mov_b64 s[0:1], -1
                                        ; implicit-def: $vgpr16_vgpr17
	s_branch .LBB9_1546
.LBB9_1538:
	s_mov_b64 s[0:1], -1
                                        ; implicit-def: $vgpr16_vgpr17
	s_branch .LBB9_1543
.LBB9_1539:
	s_mov_b64 s[0:1], -1
                                        ; implicit-def: $vgpr16_vgpr17
.LBB9_1540:
	s_andn2_b64 vcc, exec, s[0:1]
	s_cbranch_vccnz .LBB9_1542
; %bb.1541:
	global_load_dword v3, v[8:9], off
	s_waitcnt vmcnt(0)
	v_cvt_f64_i32_e32 v[16:17], v3
.LBB9_1542:
	s_mov_b64 s[0:1], 0
.LBB9_1543:
	s_andn2_b64 vcc, exec, s[0:1]
	s_cbranch_vccnz .LBB9_1545
; %bb.1544:
	global_load_sshort v3, v[8:9], off
	s_waitcnt vmcnt(0)
	v_cvt_f64_i32_e32 v[16:17], v3
.LBB9_1545:
	s_mov_b64 s[0:1], 0
.LBB9_1546:
	s_andn2_b64 vcc, exec, s[0:1]
	s_cbranch_vccnz .LBB9_1552
; %bb.1547:
	v_mov_b32_e32 v3, 0
	v_cmp_gt_i16_sdwa s[0:1], s19, v3 src0_sel:BYTE_0 src1_sel:DWORD
	s_and_b64 vcc, exec, s[0:1]
	s_cbranch_vccz .LBB9_1549
; %bb.1548:
	global_load_sbyte v3, v[8:9], off
	s_mov_b64 s[0:1], 0
	s_waitcnt vmcnt(0)
	v_cvt_f64_i32_e32 v[16:17], v3
	s_branch .LBB9_1550
.LBB9_1549:
	s_mov_b64 s[0:1], -1
                                        ; implicit-def: $vgpr16_vgpr17
.LBB9_1550:
	s_andn2_b64 vcc, exec, s[0:1]
	s_cbranch_vccnz .LBB9_1552
; %bb.1551:
	global_load_ubyte v3, v[8:9], off
	s_waitcnt vmcnt(0)
	v_cvt_f64_u32_e32 v[16:17], v3
.LBB9_1552:
.LBB9_1553:
	s_mov_b32 s0, 0
	s_mov_b32 s1, 0x40200000
	s_waitcnt vmcnt(0)
	v_cmp_le_f64_e64 s[0:1], |v[16:17]|, s[0:1]
                                        ; implicit-def: $vgpr8_vgpr9
	s_and_saveexec_b64 s[4:5], s[0:1]
	s_xor_b64 s[0:1], exec, s[4:5]
	s_cbranch_execz .LBB9_1555
; %bb.1554:
	s_mov_b32 s4, 0x2134d0ef
	v_fma_f64 v[8:9], |v[16:17]|, 0.5, -2.0
	v_mov_b32_e32 v18, 0x977da589
	v_mov_b32_e32 v19, 0x3c833362
	s_mov_b32 s5, 0xbc545cb7
	v_fmac_f64_e32 v[18:19], s[4:5], v[8:9]
	v_mov_b32_e32 v20, 0x2134d0ef
	v_mov_b32_e32 v21, 0x3c545cb7
	s_mov_b32 s4, 0x721ebbb4
	v_fmac_f64_e32 v[20:21], v[8:9], v[18:19]
	s_mov_b32 s5, 0xbcb184eb
	v_add_f64 v[20:21], v[20:21], s[4:5]
	s_mov_b32 s4, 0x93f65eba
	v_fma_f64 v[18:19], v[8:9], v[20:21], -v[18:19]
	s_mov_b32 s5, 0x3cdee6d8
	v_add_f64 v[18:19], v[18:19], s[4:5]
	s_mov_b32 s4, 0xc297fbeb
	v_fma_f64 v[20:21], v[8:9], v[18:19], -v[20:21]
	;; [unrolled: 4-line block ×27, first 2 shown]
	s_mov_b32 s5, 0x3fe5a84e
	v_add_f64 v[8:9], v[8:9], s[4:5]
	s_mov_b32 s4, 0x652b82fe
	s_mov_b32 s5, 0x3ff71547
	v_mul_f64 v[20:21], |v[16:17]|, s[4:5]
	s_mov_b32 s4, 0xfefa39ef
	v_rndne_f64_e32 v[20:21], v[20:21]
	s_mov_b32 s5, 0xbfe62e42
	v_fma_f64 v[22:23], v[20:21], s[4:5], |v[16:17]|
	s_mov_b32 s4, 0x3b39803f
	s_mov_b32 s5, 0xbc7abc9e
	v_fmac_f64_e32 v[22:23], s[4:5], v[20:21]
	s_mov_b32 s4, 0x6a5dcb37
	v_mov_b32_e32 v24, 0xfca7ab0c
	v_mov_b32_e32 v25, 0x3e928af3
	s_mov_b32 s5, 0x3e5ade15
	v_fmac_f64_e32 v[24:25], s[4:5], v[22:23]
	v_mov_b32_e32 v26, 0x623fde64
	v_mov_b32_e32 v27, 0x3ec71dee
	v_fmac_f64_e32 v[26:27], v[22:23], v[24:25]
	v_mov_b32_e32 v24, 0x7c89e6b0
	v_mov_b32_e32 v25, 0x3efa0199
	;; [unrolled: 3-line block ×8, first 2 shown]
	v_fmac_f64_e32 v[24:25], v[22:23], v[26:27]
	v_fma_f64 v[24:25], v[22:23], v[24:25], 1.0
	s_mov_b32 s4, 0
	v_fma_f64 v[22:23], v[22:23], v[24:25], 1.0
	v_cvt_i32_f64_e32 v3, v[20:21]
	s_mov_b32 s5, 0x40900000
	v_ldexp_f64 v[20:21], v[22:23], v3
	v_mov_b32_e32 v3, 0x7ff00000
	v_cmp_ngt_f64_e64 vcc, |v[16:17]|, s[4:5]
	v_add_f64 v[8:9], v[8:9], -v[18:19]
	v_cndmask_b32_e32 v17, v3, v21, vcc
	v_cndmask_b32_e32 v16, 0, v20, vcc
	v_mul_f64 v[8:9], v[8:9], 0.5
	v_mul_f64 v[8:9], v[16:17], v[8:9]
                                        ; implicit-def: $vgpr16_vgpr17
.LBB9_1555:
	s_andn2_saveexec_b64 s[0:1], s[0:1]
	s_cbranch_execz .LBB9_1557
; %bb.1556:
	s_mov_b32 s4, 0
	v_and_b32_e32 v9, 0x7fffffff, v17
	v_mov_b32_e32 v8, v16
	s_mov_b32 s5, 0x40400000
	v_div_scale_f64 v[18:19], s[6:7], v[8:9], v[8:9], s[4:5]
	v_rcp_f64_e32 v[20:21], v[18:19]
	v_div_scale_f64 v[8:9], vcc, s[4:5], v[8:9], s[4:5]
	v_mov_b32_e32 v24, 0xfca7ab0c
	v_fma_f64 v[22:23], -v[18:19], v[20:21], 1.0
	v_fmac_f64_e32 v[20:21], v[20:21], v[22:23]
	v_fma_f64 v[22:23], -v[18:19], v[20:21], 1.0
	v_fmac_f64_e32 v[20:21], v[20:21], v[22:23]
	v_mul_f64 v[22:23], v[8:9], v[20:21]
	v_fma_f64 v[8:9], -v[18:19], v[22:23], v[8:9]
	v_div_fmas_f64 v[8:9], v[8:9], v[20:21], v[22:23]
	v_div_fixup_f64 v[8:9], v[8:9], |v[16:17]|, s[4:5]
	s_mov_b32 s4, 0x54ca8b19
	v_add_f64 v[8:9], v[8:9], -2.0
	v_mov_b32_e32 v18, 0x66119130
	v_mov_b32_e32 v19, 0xbc5646da
	s_mov_b32 s5, 0xbc60adb7
	v_fmac_f64_e32 v[18:19], s[4:5], v[8:9]
	v_mov_b32_e32 v20, 0x54ca8b19
	v_mov_b32_e32 v21, 0x3c60adb7
	s_mov_b32 s4, 0x12d98421
	v_fmac_f64_e32 v[20:21], v[8:9], v[18:19]
	s_mov_b32 s5, 0x3c89be18
	v_add_f64 v[20:21], v[20:21], s[4:5]
	s_mov_b32 s4, 0x76041cd
	v_fma_f64 v[18:19], v[8:9], v[20:21], -v[18:19]
	s_mov_b32 s5, 0x3c83f3dd
	v_add_f64 v[18:19], v[18:19], s[4:5]
	s_mov_b32 s4, 0xabd21fe4
	v_fma_f64 v[20:21], v[8:9], v[18:19], -v[20:21]
	s_mov_b32 s5, 0xbcb4600b
	v_add_f64 v[20:21], v[20:21], s[4:5]
	s_mov_b32 s4, 0xd908de38
	v_fma_f64 v[18:19], v[8:9], v[20:21], -v[18:19]
	s_mov_b32 s5, 0xbcb8aee7
	v_add_f64 v[18:19], v[18:19], s[4:5]
	s_mov_b32 s4, 0xa3eafb1f
	v_fma_f64 v[20:21], v[8:9], v[18:19], -v[20:21]
	s_mov_b32 s5, 0x3cdfee7d
	v_add_f64 v[20:21], v[20:21], s[4:5]
	s_mov_b32 s4, 0x9094e6d7
	v_fma_f64 v[18:19], v[8:9], v[20:21], -v[18:19]
	s_mov_b32 s5, 0x3cf12a91
	v_add_f64 v[18:19], v[18:19], s[4:5]
	s_mov_b32 s4, 0x7e65629a
	v_fma_f64 v[20:21], v[8:9], v[18:19], -v[20:21]
	s_mov_b32 s5, 0xbd0583fe
	v_add_f64 v[20:21], v[20:21], s[4:5]
	s_mov_b32 s4, 0xcf68bb32
	v_fma_f64 v[18:19], v[8:9], v[20:21], -v[18:19]
	s_mov_b32 s5, 0xbd275d99
	v_add_f64 v[18:19], v[18:19], s[4:5]
	s_mov_b32 s4, 0xd5fc545
	v_fma_f64 v[20:21], v[8:9], v[18:19], -v[20:21]
	s_mov_b32 s5, 0x3d1156ff
	v_add_f64 v[20:21], v[20:21], s[4:5]
	s_mov_b32 s4, 0x6b83c073
	v_fma_f64 v[18:19], v[8:9], v[20:21], -v[18:19]
	s_mov_b32 s5, 0x3d5b1c8c
	v_add_f64 v[18:19], v[18:19], s[4:5]
	s_mov_b32 s4, 0xfa268cec
	v_fma_f64 v[20:21], v[8:9], v[18:19], -v[20:21]
	s_mov_b32 s5, 0x3d694347
	v_add_f64 v[20:21], v[20:21], s[4:5]
	s_mov_b32 s4, 0x3178d66
	v_fma_f64 v[18:19], v[8:9], v[20:21], -v[18:19]
	s_mov_b32 s5, 0xbd7f9043
	v_add_f64 v[18:19], v[18:19], s[4:5]
	s_mov_b32 s4, 0x357e7bf2
	v_fma_f64 v[20:21], v[8:9], v[18:19], -v[20:21]
	s_mov_b32 s5, 0xbdad0fd7
	v_add_f64 v[20:21], v[20:21], s[4:5]
	s_mov_b32 s4, 0x8397425
	v_fma_f64 v[18:19], v[8:9], v[20:21], -v[18:19]
	s_mov_b32 s5, 0xbdc1511d
	v_add_f64 v[18:19], v[18:19], s[4:5]
	s_mov_b32 s4, 0xabe8004f
	v_fma_f64 v[20:21], v[8:9], v[18:19], -v[20:21]
	s_mov_b32 s5, 0x3daa24fe
	v_add_f64 v[20:21], v[20:21], s[4:5]
	s_mov_b32 s4, 0xc0f46f75
	v_fma_f64 v[18:19], v[8:9], v[20:21], -v[18:19]
	s_mov_b32 s5, 0x3e00f9cc
	v_add_f64 v[18:19], v[18:19], s[4:5]
	s_mov_b32 s4, 0xa9225b87
	v_fma_f64 v[20:21], v[8:9], v[18:19], -v[20:21]
	s_mov_b32 s5, 0x3e2d2c64
	v_add_f64 v[20:21], v[20:21], s[4:5]
	s_mov_b32 s4, 0x80d6d56d
	v_fma_f64 v[18:19], v[8:9], v[20:21], -v[18:19]
	s_mov_b32 s5, 0x3e585692
	v_add_f64 v[18:19], v[18:19], s[4:5]
	s_mov_b32 s4, 0xd9cd616e
	v_fma_f64 v[20:21], v[8:9], v[18:19], -v[20:21]
	s_mov_b32 s5, 0x3e8b8007
	v_add_f64 v[20:21], v[20:21], s[4:5]
	s_mov_b32 s4, 0xc101c586
	v_fma_f64 v[18:19], v[8:9], v[20:21], -v[18:19]
	s_mov_b32 s5, 0x3ec8412b
	v_add_f64 v[18:19], v[18:19], s[4:5]
	s_mov_b32 s4, 0x78999e52
	v_fma_f64 v[20:21], v[8:9], v[18:19], -v[20:21]
	s_mov_b32 s5, 0x3f120fa3
	v_add_f64 v[20:21], v[20:21], s[4:5]
	s_mov_b32 s4, 0xa2e59049
	v_fma_f64 v[18:19], v[8:9], v[20:21], -v[18:19]
	s_mov_b32 s5, 0x3f6b998c
	v_add_f64 v[18:19], v[18:19], s[4:5]
	s_mov_b32 s4, 0xaca809cb
	v_fma_f64 v[8:9], v[8:9], v[18:19], -v[20:21]
	s_mov_b32 s5, 0x3fe9be62
	v_add_f64 v[8:9], v[8:9], s[4:5]
	s_mov_b32 s4, 0x652b82fe
	s_mov_b32 s5, 0x3ff71547
	v_mul_f64 v[18:19], |v[16:17]|, s[4:5]
	s_mov_b32 s4, 0xfefa39ef
	v_rndne_f64_e32 v[18:19], v[18:19]
	s_mov_b32 s5, 0xbfe62e42
	v_fma_f64 v[22:23], v[18:19], s[4:5], |v[16:17]|
	s_mov_b32 s4, 0x3b39803f
	s_mov_b32 s5, 0xbc7abc9e
	v_fmac_f64_e32 v[22:23], s[4:5], v[18:19]
	s_mov_b32 s4, 0x6a5dcb37
	v_mov_b32_e32 v25, 0x3e928af3
	s_mov_b32 s5, 0x3e5ade15
	v_fmac_f64_e32 v[24:25], s[4:5], v[22:23]
	v_mov_b32_e32 v26, 0x623fde64
	v_mov_b32_e32 v27, 0x3ec71dee
	v_fmac_f64_e32 v[26:27], v[22:23], v[24:25]
	v_mov_b32_e32 v24, 0x7c89e6b0
	v_mov_b32_e32 v25, 0x3efa0199
	;; [unrolled: 3-line block ×8, first 2 shown]
	v_fmac_f64_e32 v[24:25], v[22:23], v[26:27]
	s_mov_b32 s4, 0
	v_fma_f64 v[24:25], v[22:23], v[24:25], 1.0
	s_mov_b32 s5, 0x40900000
	v_fma_f64 v[22:23], v[22:23], v[24:25], 1.0
	v_cvt_i32_f64_e32 v3, v[18:19]
	v_cmp_ngt_f64_e64 vcc, |v[16:17]|, s[4:5]
	s_mov_b32 s4, 0
	v_ldexp_f64 v[18:19], v[22:23], v3
	v_mov_b32_e32 v3, 0x7ff00000
	s_brev_b32 s5, 8
	v_cndmask_b32_e32 v19, v3, v19, vcc
	v_cndmask_b32_e32 v18, 0, v18, vcc
	v_cmp_lt_f64_e64 vcc, |v[16:17]|, s[4:5]
	v_cndmask_b32_e64 v3, 0, 1, vcc
	v_lshlrev_b32_e32 v3, 8, v3
	v_ldexp_f64 v[16:17], |v[16:17]|, v3
	v_rsq_f64_e32 v[22:23], v[16:17]
	v_add_f64 v[8:9], v[8:9], -v[20:21]
	v_mul_f64 v[8:9], v[8:9], 0.5
	v_mul_f64 v[8:9], v[18:19], v[8:9]
	v_mul_f64 v[18:19], v[16:17], v[22:23]
	v_mul_f64 v[20:21], v[22:23], 0.5
	v_fma_f64 v[22:23], -v[20:21], v[18:19], 0.5
	v_fmac_f64_e32 v[18:19], v[18:19], v[22:23]
	v_fma_f64 v[24:25], -v[18:19], v[18:19], v[16:17]
	v_fmac_f64_e32 v[20:21], v[20:21], v[22:23]
	v_fmac_f64_e32 v[18:19], v[24:25], v[20:21]
	v_fma_f64 v[22:23], -v[18:19], v[18:19], v[16:17]
	v_mov_b32_e32 v3, 0xffffff80
	v_fmac_f64_e32 v[18:19], v[22:23], v[20:21]
	v_cndmask_b32_e32 v3, 0, v3, vcc
	v_ldexp_f64 v[18:19], v[18:19], v3
	v_mov_b32_e32 v3, 0x260
	v_cmp_class_f64_e32 vcc, v[16:17], v3
	v_cndmask_b32_e32 v17, v19, v17, vcc
	v_cndmask_b32_e32 v16, v18, v16, vcc
	v_div_scale_f64 v[18:19], s[4:5], v[16:17], v[16:17], v[8:9]
	v_rcp_f64_e32 v[20:21], v[18:19]
	v_fma_f64 v[22:23], -v[18:19], v[20:21], 1.0
	v_fmac_f64_e32 v[20:21], v[20:21], v[22:23]
	v_fma_f64 v[22:23], -v[18:19], v[20:21], 1.0
	v_fmac_f64_e32 v[20:21], v[20:21], v[22:23]
	v_div_scale_f64 v[22:23], vcc, v[8:9], v[16:17], v[8:9]
	v_mul_f64 v[24:25], v[22:23], v[20:21]
	v_fma_f64 v[18:19], -v[18:19], v[24:25], v[22:23]
	s_nop 1
	v_div_fmas_f64 v[18:19], v[18:19], v[20:21], v[24:25]
	v_div_fixup_f64 v[8:9], v[18:19], v[16:17], v[8:9]
.LBB9_1557:
	s_or_b64 exec, exec, s[0:1]
	v_mov_b32_e32 v3, s11
	v_add_co_u32_e32 v12, vcc, s10, v12
	v_addc_co_u32_e32 v13, vcc, 0, v3, vcc
	v_mov_b32_e32 v3, 11
	v_cmp_lt_i16_sdwa s[0:1], s19, v3 src0_sel:BYTE_0 src1_sel:DWORD
	s_and_b64 vcc, exec, s[0:1]
	s_cbranch_vccnz .LBB9_1564
; %bb.1558:
	v_mov_b32_e32 v3, 25
	v_cmp_gt_i16_sdwa s[0:1], s19, v3 src0_sel:BYTE_0 src1_sel:DWORD
	s_mov_b64 s[4:5], 0
	s_and_b64 vcc, exec, s[0:1]
	s_cbranch_vccz .LBB9_1565
; %bb.1559:
	v_mov_b32_e32 v3, 28
	v_cmp_gt_i16_sdwa s[0:1], s19, v3 src0_sel:BYTE_0 src1_sel:DWORD
	s_and_b64 vcc, exec, s[0:1]
	s_cbranch_vccz .LBB9_1566
; %bb.1560:
	v_mov_b32_e32 v3, 43
	v_cmp_gt_i16_sdwa s[0:1], s19, v3 src0_sel:BYTE_0 src1_sel:DWORD
	;; [unrolled: 5-line block ×3, first 2 shown]
	s_and_b64 vcc, exec, s[0:1]
	s_cbranch_vccz .LBB9_1569
; %bb.1562:
	v_mov_b32_e32 v3, 46
	v_cmp_eq_u16_sdwa s[0:1], s19, v3 src0_sel:BYTE_0 src1_sel:DWORD
	s_mov_b64 s[10:11], 0
	s_and_b64 vcc, exec, s[0:1]
	s_cbranch_vccz .LBB9_1570
; %bb.1563:
	global_load_dword v3, v[12:13], off
	s_mov_b64 s[0:1], 0
	s_mov_b64 s[6:7], -1
	s_waitcnt vmcnt(0)
	v_lshlrev_b32_e32 v3, 16, v3
	v_cvt_f64_f32_e32 v[16:17], v3
	s_branch .LBB9_1571
.LBB9_1564:
	s_mov_b64 s[0:1], -1
	s_mov_b64 s[6:7], 0
                                        ; implicit-def: $vgpr16_vgpr17
	s_branch .LBB9_1637
.LBB9_1565:
	s_mov_b64 s[10:11], -1
	s_mov_b64 s[6:7], 0
	s_mov_b64 s[0:1], 0
                                        ; implicit-def: $vgpr16_vgpr17
	s_branch .LBB9_1600
.LBB9_1566:
	s_mov_b64 s[10:11], -1
	s_mov_b64 s[6:7], 0
	s_mov_b64 s[0:1], 0
                                        ; implicit-def: $vgpr16_vgpr17
	s_branch .LBB9_1581
.LBB9_1567:
	s_mov_b64 s[10:11], -1
	s_mov_b64 s[6:7], 0
	s_mov_b64 s[0:1], 0
                                        ; implicit-def: $vgpr16_vgpr17
	s_branch .LBB9_1576
.LBB9_1568:
	s_trap 2
	s_or_b64 s[2:3], s[2:3], exec
                                        ; implicit-def: $vgpr16_vgpr17
	s_cbranch_execz .LBB9_1503
	s_branch .LBB9_1504
.LBB9_1569:
	s_mov_b64 s[10:11], -1
	s_mov_b64 s[6:7], 0
	s_mov_b64 s[0:1], 0
                                        ; implicit-def: $vgpr16_vgpr17
	s_branch .LBB9_1571
.LBB9_1570:
	s_mov_b64 s[0:1], -1
                                        ; implicit-def: $vgpr16_vgpr17
	s_mov_b64 s[6:7], 0
.LBB9_1571:
	s_and_b64 vcc, exec, s[10:11]
	s_cbranch_vccz .LBB9_1575
; %bb.1572:
	v_mov_b32_e32 v3, 44
	v_cmp_eq_u16_sdwa s[0:1], s19, v3 src0_sel:BYTE_0 src1_sel:DWORD
	s_and_b64 vcc, exec, s[0:1]
	s_cbranch_vccz .LBB9_1574
; %bb.1573:
	global_load_ubyte v3, v[12:13], off
	s_movk_i32 s6, 0xff
	v_bfrev_b32_e32 v7, 4
	v_mov_b32_e32 v11, 0x7ff80000
	v_bfrev_b32_e32 v15, 28
	s_mov_b64 s[0:1], 0
	s_waitcnt vmcnt(0)
	v_lshlrev_b32_e32 v16, 23, v3
	v_cvt_f64_f32_e32 v[16:17], v16
	v_cmp_ne_u32_e32 vcc, s6, v3
	v_cndmask_b32_e32 v7, v7, v16, vcc
	v_cndmask_b32_e32 v11, v11, v17, vcc
	v_cmp_ne_u32_e32 vcc, 0, v3
	v_cndmask_b32_e32 v17, v15, v11, vcc
	v_cndmask_b32_e32 v16, 0, v7, vcc
	s_mov_b64 s[6:7], -1
	s_branch .LBB9_1575
.LBB9_1574:
	s_mov_b64 s[0:1], -1
                                        ; implicit-def: $vgpr16_vgpr17
.LBB9_1575:
	s_mov_b64 s[10:11], 0
.LBB9_1576:
	s_and_b64 vcc, exec, s[10:11]
	s_cbranch_vccz .LBB9_1580
; %bb.1577:
	v_mov_b32_e32 v3, 29
	v_cmp_eq_u16_sdwa s[0:1], s19, v3 src0_sel:BYTE_0 src1_sel:DWORD
	s_and_b64 vcc, exec, s[0:1]
	s_cbranch_vccz .LBB9_1579
; %bb.1578:
	global_load_dwordx2 v[16:17], v[12:13], off
	s_mov_b64 s[0:1], 0
	s_mov_b64 s[6:7], -1
	s_mov_b64 s[10:11], 0
	s_waitcnt vmcnt(0)
	v_cvt_f64_u32_e32 v[18:19], v17
	v_cvt_f64_u32_e32 v[16:17], v16
	v_ldexp_f64 v[18:19], v[18:19], 32
	v_add_f64 v[16:17], v[18:19], v[16:17]
	s_branch .LBB9_1581
.LBB9_1579:
	s_mov_b64 s[0:1], -1
                                        ; implicit-def: $vgpr16_vgpr17
.LBB9_1580:
	s_mov_b64 s[10:11], 0
.LBB9_1581:
	s_and_b64 vcc, exec, s[10:11]
	s_cbranch_vccz .LBB9_1599
; %bb.1582:
	v_mov_b32_e32 v3, 27
	v_cmp_lt_i16_sdwa s[6:7], s19, v3 src0_sel:BYTE_0 src1_sel:DWORD
	s_and_b64 vcc, exec, s[6:7]
	s_cbranch_vccnz .LBB9_1585
; %bb.1583:
	v_cmp_gt_i16_sdwa s[6:7], s19, v3 src0_sel:BYTE_0 src1_sel:DWORD
	s_and_b64 vcc, exec, s[6:7]
	s_cbranch_vccz .LBB9_1586
; %bb.1584:
	global_load_dword v3, v[12:13], off
	s_mov_b64 s[6:7], 0
	s_waitcnt vmcnt(0)
	v_cvt_f64_u32_e32 v[16:17], v3
	s_branch .LBB9_1587
.LBB9_1585:
	s_mov_b64 s[6:7], -1
                                        ; implicit-def: $vgpr16_vgpr17
	s_branch .LBB9_1590
.LBB9_1586:
	s_mov_b64 s[6:7], -1
                                        ; implicit-def: $vgpr16_vgpr17
.LBB9_1587:
	s_andn2_b64 vcc, exec, s[6:7]
	s_cbranch_vccnz .LBB9_1589
; %bb.1588:
	global_load_ushort v3, v[12:13], off
	s_waitcnt vmcnt(0)
	v_cvt_f64_u32_e32 v[16:17], v3
.LBB9_1589:
	s_mov_b64 s[6:7], 0
.LBB9_1590:
	s_andn2_b64 vcc, exec, s[6:7]
	s_cbranch_vccnz .LBB9_1598
; %bb.1591:
	global_load_ubyte v3, v[12:13], off
	s_movk_i32 s6, 0x7f
                                        ; implicit-def: $sgpr10_sgpr11
	s_waitcnt vmcnt(0)
	v_cmp_lt_i16_e32 vcc, s6, v3
	s_mov_b64 s[6:7], 0
	s_and_saveexec_b64 s[12:13], vcc
	s_xor_b64 s[12:13], exec, s[12:13]
	s_cbranch_execz .LBB9_1612
; %bb.1592:
	s_movk_i32 s6, 0x80
	v_cmp_eq_u16_e32 vcc, s6, v3
	s_mov_b64 s[14:15], -1
                                        ; implicit-def: $sgpr10_sgpr11
	s_and_saveexec_b64 s[6:7], vcc
; %bb.1593:
	s_mov_b32 s11, 0x7ff80000
	s_brev_b32 s10, 4
	s_xor_b64 s[14:15], exec, -1
; %bb.1594:
	s_or_b64 exec, exec, s[6:7]
	s_and_b64 s[6:7], s[14:15], exec
	s_or_saveexec_b64 s[12:13], s[12:13]
	v_pk_mov_b32 v[16:17], s[10:11], s[10:11] op_sel:[0,1]
	s_xor_b64 exec, exec, s[12:13]
	s_cbranch_execnz .LBB9_1613
.LBB9_1595:
	s_or_b64 exec, exec, s[12:13]
	s_and_saveexec_b64 s[10:11], s[6:7]
	s_cbranch_execz .LBB9_1597
.LBB9_1596:
	v_lshlrev_b32_e32 v7, 24, v3
	v_and_b32_e32 v3, 0xffff, v3
	v_and_b32_e32 v11, 7, v3
	v_ffbh_u32_e32 v16, v11
	v_min_u32_e32 v16, 32, v16
	v_subrev_u32_e32 v17, 28, v16
	v_bfe_u32 v15, v3, 3, 4
	v_lshlrev_b32_e32 v3, v17, v3
	v_sub_u32_e32 v16, 29, v16
	v_and_b32_e32 v3, 7, v3
	v_cmp_eq_u32_e32 vcc, 0, v15
	v_cndmask_b32_e32 v15, v15, v16, vcc
	v_cndmask_b32_e32 v3, v11, v3, vcc
	v_mov_b32_e32 v11, 0x3b800000
	v_lshlrev_b32_e32 v3, 20, v3
	v_and_b32_e32 v7, 0x80000000, v7
	v_lshl_add_u32 v11, v15, 23, v11
	v_or3_b32 v3, v7, v11, v3
	v_cvt_f64_f32_e32 v[16:17], v3
.LBB9_1597:
	s_or_b64 exec, exec, s[10:11]
.LBB9_1598:
	s_mov_b64 s[6:7], -1
.LBB9_1599:
	s_mov_b64 s[10:11], 0
.LBB9_1600:
	s_and_b64 vcc, exec, s[10:11]
	s_cbranch_vccz .LBB9_1633
; %bb.1601:
	v_mov_b32_e32 v3, 22
	v_cmp_gt_i16_sdwa s[4:5], s19, v3 src0_sel:BYTE_0 src1_sel:DWORD
	s_and_b64 vcc, exec, s[4:5]
	s_cbranch_vccz .LBB9_1611
; %bb.1602:
	v_mov_b32_e32 v3, 24
	v_cmp_lt_i16_sdwa s[4:5], s19, v3 src0_sel:BYTE_0 src1_sel:DWORD
	s_and_b64 vcc, exec, s[4:5]
	s_cbranch_vccnz .LBB9_1614
; %bb.1603:
	v_cmp_gt_i16_sdwa s[4:5], s19, v3 src0_sel:BYTE_0 src1_sel:DWORD
	s_and_b64 vcc, exec, s[4:5]
	s_cbranch_vccz .LBB9_1615
; %bb.1604:
	global_load_ubyte v3, v[12:13], off
	s_movk_i32 s4, 0x7f
                                        ; implicit-def: $sgpr6_sgpr7
	s_waitcnt vmcnt(0)
	v_cmp_lt_i16_e32 vcc, s4, v3
	s_mov_b64 s[4:5], 0
	s_and_saveexec_b64 s[10:11], vcc
	s_xor_b64 s[10:11], exec, s[10:11]
	s_cbranch_execz .LBB9_1627
; %bb.1605:
	s_movk_i32 s4, 0x80
	v_cmp_eq_u16_e32 vcc, s4, v3
	s_mov_b64 s[12:13], -1
                                        ; implicit-def: $sgpr6_sgpr7
	s_and_saveexec_b64 s[4:5], vcc
; %bb.1606:
	s_mov_b32 s7, 0x7ff80000
	s_brev_b32 s6, 4
	s_xor_b64 s[12:13], exec, -1
; %bb.1607:
	s_or_b64 exec, exec, s[4:5]
	s_and_b64 s[4:5], s[12:13], exec
	s_or_saveexec_b64 s[10:11], s[10:11]
	v_pk_mov_b32 v[16:17], s[6:7], s[6:7] op_sel:[0,1]
	s_xor_b64 exec, exec, s[10:11]
	s_cbranch_execnz .LBB9_1628
.LBB9_1608:
	s_or_b64 exec, exec, s[10:11]
	s_and_saveexec_b64 s[6:7], s[4:5]
	s_cbranch_execz .LBB9_1610
.LBB9_1609:
	v_lshlrev_b32_e32 v7, 24, v3
	v_and_b32_e32 v3, 0xffff, v3
	v_and_b32_e32 v11, 3, v3
	v_ffbh_u32_e32 v16, v11
	v_min_u32_e32 v16, 32, v16
	v_subrev_u32_e32 v17, 29, v16
	v_bfe_u32 v15, v3, 2, 5
	v_lshlrev_b32_e32 v3, v17, v3
	v_sub_u32_e32 v16, 30, v16
	v_and_b32_e32 v3, 3, v3
	v_cmp_eq_u32_e32 vcc, 0, v15
	v_cndmask_b32_e32 v15, v15, v16, vcc
	v_cndmask_b32_e32 v3, v11, v3, vcc
	v_mov_b32_e32 v11, 0x37800000
	v_lshlrev_b32_e32 v3, 21, v3
	v_and_b32_e32 v7, 0x80000000, v7
	v_lshl_add_u32 v11, v15, 23, v11
	v_or3_b32 v3, v7, v11, v3
	v_cvt_f64_f32_e32 v[16:17], v3
.LBB9_1610:
	s_or_b64 exec, exec, s[6:7]
	s_mov_b64 s[4:5], 0
	s_branch .LBB9_1616
.LBB9_1611:
	s_mov_b64 s[4:5], -1
                                        ; implicit-def: $vgpr16_vgpr17
	s_branch .LBB9_1622
.LBB9_1612:
	s_or_saveexec_b64 s[12:13], s[12:13]
	v_pk_mov_b32 v[16:17], s[10:11], s[10:11] op_sel:[0,1]
	s_xor_b64 exec, exec, s[12:13]
	s_cbranch_execz .LBB9_1595
.LBB9_1613:
	v_cmp_ne_u16_e32 vcc, 0, v3
	s_andn2_b64 s[6:7], s[6:7], exec
	s_and_b64 s[10:11], vcc, exec
	v_pk_mov_b32 v[16:17], 0, 0
	s_or_b64 s[6:7], s[6:7], s[10:11]
	s_or_b64 exec, exec, s[12:13]
	s_and_saveexec_b64 s[10:11], s[6:7]
	s_cbranch_execnz .LBB9_1596
	s_branch .LBB9_1597
.LBB9_1614:
	s_mov_b64 s[4:5], -1
                                        ; implicit-def: $vgpr16_vgpr17
	s_branch .LBB9_1619
.LBB9_1615:
	s_mov_b64 s[4:5], -1
                                        ; implicit-def: $vgpr16_vgpr17
.LBB9_1616:
	s_and_b64 vcc, exec, s[4:5]
	s_cbranch_vccz .LBB9_1618
; %bb.1617:
	global_load_ubyte v3, v[12:13], off
	s_mov_b32 s4, 0x7f800000
	s_waitcnt vmcnt(0)
	v_lshlrev_b32_e32 v3, 24, v3
	v_and_b32_e32 v7, 0x7f000000, v3
	v_ffbh_u32_e32 v11, v7
	v_min_u32_e32 v11, 32, v11
	v_sub_u32_e64 v11, v11, 4 clamp
	v_lshlrev_b32_e32 v16, v11, v7
	v_lshlrev_b32_e32 v11, 23, v11
	v_lshrrev_b32_e32 v16, 4, v16
	v_add_u32_e32 v15, 0x1000000, v7
	v_sub_u32_e32 v11, v16, v11
	v_ashrrev_i32_e32 v15, 8, v15
	v_add_u32_e32 v11, 0x3c000000, v11
	v_and_or_b32 v11, v15, s4, v11
	v_cmp_ne_u32_e32 vcc, 0, v7
	v_cndmask_b32_e32 v7, 0, v11, vcc
	s_brev_b32 s4, 1
	v_and_or_b32 v3, v3, s4, v7
	v_cvt_f64_f32_e32 v[16:17], v3
.LBB9_1618:
	s_mov_b64 s[4:5], 0
.LBB9_1619:
	s_andn2_b64 vcc, exec, s[4:5]
	s_cbranch_vccnz .LBB9_1621
; %bb.1620:
	global_load_ubyte v3, v[12:13], off
	s_movk_i32 s4, 0x7f00
	s_brev_b32 s5, 16
	s_waitcnt vmcnt(0)
	v_lshlrev_b16_e32 v7, 8, v3
	v_lshlrev_b32_e32 v3, 25, v3
	v_lshrrev_b32_e32 v11, 4, v3
	v_and_or_b32 v15, v7, s4, 0.5
	v_or_b32_e32 v11, 0x70000000, v11
	v_add_f32_e32 v15, -0.5, v15
	v_mul_f32_e32 v11, 0x7800000, v11
	v_cmp_gt_u32_e32 vcc, s5, v3
	v_bfe_i32 v7, v7, 0, 16
	v_cndmask_b32_e32 v3, v11, v15, vcc
	s_brev_b32 s4, 1
	v_and_or_b32 v3, v7, s4, v3
	v_cvt_f64_f32_e32 v[16:17], v3
.LBB9_1621:
	s_mov_b64 s[4:5], 0
	s_mov_b64 s[6:7], -1
.LBB9_1622:
	s_andn2_b64 vcc, exec, s[4:5]
	s_mov_b64 s[4:5], 0
	s_cbranch_vccnz .LBB9_1633
; %bb.1623:
	v_mov_b32_e32 v3, 14
	v_cmp_gt_i16_sdwa s[4:5], s19, v3 src0_sel:BYTE_0 src1_sel:DWORD
	s_and_b64 vcc, exec, s[4:5]
	s_cbranch_vccz .LBB9_1626
; %bb.1624:
	v_mov_b32_e32 v3, 15
	v_cmp_eq_u16_sdwa s[0:1], s19, v3 src0_sel:BYTE_0 src1_sel:DWORD
	s_and_b64 vcc, exec, s[0:1]
	s_cbranch_vccz .LBB9_1629
; %bb.1625:
	global_load_ushort v3, v[12:13], off
	s_mov_b64 s[0:1], 0
	s_mov_b64 s[6:7], -1
	s_waitcnt vmcnt(0)
	v_lshlrev_b32_e32 v3, 16, v3
	v_cvt_f64_f32_e32 v[16:17], v3
	s_branch .LBB9_1630
.LBB9_1626:
	s_mov_b64 s[10:11], -1
                                        ; implicit-def: $vgpr16_vgpr17
	s_branch .LBB9_1631
.LBB9_1627:
	s_or_saveexec_b64 s[10:11], s[10:11]
	v_pk_mov_b32 v[16:17], s[6:7], s[6:7] op_sel:[0,1]
	s_xor_b64 exec, exec, s[10:11]
	s_cbranch_execz .LBB9_1608
.LBB9_1628:
	v_cmp_ne_u16_e32 vcc, 0, v3
	s_andn2_b64 s[4:5], s[4:5], exec
	s_and_b64 s[6:7], vcc, exec
	v_pk_mov_b32 v[16:17], 0, 0
	s_or_b64 s[4:5], s[4:5], s[6:7]
	s_or_b64 exec, exec, s[10:11]
	s_and_saveexec_b64 s[6:7], s[4:5]
	s_cbranch_execnz .LBB9_1609
	s_branch .LBB9_1610
.LBB9_1629:
	s_mov_b64 s[0:1], -1
                                        ; implicit-def: $vgpr16_vgpr17
.LBB9_1630:
	s_mov_b64 s[10:11], 0
.LBB9_1631:
	s_mov_b64 s[4:5], 0
	s_and_b64 vcc, exec, s[10:11]
	s_cbranch_vccz .LBB9_1633
; %bb.1632:
	v_mov_b32_e32 v3, 11
	v_cmp_ne_u16_sdwa s[0:1], s19, v3 src0_sel:BYTE_0 src1_sel:DWORD
	s_mov_b64 s[4:5], -1
                                        ; implicit-def: $vgpr16_vgpr17
.LBB9_1633:
	s_and_b64 vcc, exec, s[0:1]
	s_cbranch_vccnz .LBB9_1747
; %bb.1634:
	s_andn2_b64 vcc, exec, s[4:5]
	s_cbranch_vccnz .LBB9_1636
.LBB9_1635:
	global_load_ubyte v3, v[12:13], off
	v_mov_b32_e32 v7, 0x3ff00000
	v_mov_b32_e32 v16, 0
	s_mov_b64 s[6:7], -1
	s_waitcnt vmcnt(0)
	v_cmp_ne_u16_e32 vcc, 0, v3
	v_cndmask_b32_e32 v17, 0, v7, vcc
.LBB9_1636:
	s_mov_b64 s[0:1], 0
.LBB9_1637:
	s_and_b64 vcc, exec, s[0:1]
	s_cbranch_vccz .LBB9_1686
; %bb.1638:
	v_mov_b32_e32 v3, 5
	v_cmp_lt_i16_sdwa s[0:1], s19, v3 src0_sel:BYTE_0 src1_sel:DWORD
	s_and_b64 vcc, exec, s[0:1]
	s_cbranch_vccnz .LBB9_1643
; %bb.1639:
	v_mov_b32_e32 v3, 8
	v_cmp_lt_i16_sdwa s[0:1], s19, v3 src0_sel:BYTE_0 src1_sel:DWORD
	s_and_b64 vcc, exec, s[0:1]
	s_cbranch_vccnz .LBB9_1644
	;; [unrolled: 5-line block ×3, first 2 shown]
; %bb.1641:
	v_cmp_gt_i16_sdwa s[0:1], s19, v3 src0_sel:BYTE_0 src1_sel:DWORD
	s_and_b64 vcc, exec, s[0:1]
	s_cbranch_vccz .LBB9_1646
; %bb.1642:
	global_load_dwordx2 v[16:17], v[12:13], off
	s_mov_b64 s[0:1], 0
	s_branch .LBB9_1647
.LBB9_1643:
	s_mov_b64 s[0:1], -1
                                        ; implicit-def: $vgpr16_vgpr17
	s_branch .LBB9_1665
.LBB9_1644:
	s_mov_b64 s[0:1], -1
                                        ; implicit-def: $vgpr16_vgpr17
	s_branch .LBB9_1653
.LBB9_1645:
	s_mov_b64 s[0:1], -1
                                        ; implicit-def: $vgpr16_vgpr17
	s_branch .LBB9_1650
.LBB9_1646:
	s_mov_b64 s[0:1], -1
                                        ; implicit-def: $vgpr16_vgpr17
.LBB9_1647:
	s_andn2_b64 vcc, exec, s[0:1]
	s_cbranch_vccnz .LBB9_1649
; %bb.1648:
	global_load_dword v3, v[12:13], off
	s_waitcnt vmcnt(0)
	v_cvt_f64_f32_e32 v[16:17], v3
.LBB9_1649:
	s_mov_b64 s[0:1], 0
.LBB9_1650:
	s_andn2_b64 vcc, exec, s[0:1]
	s_cbranch_vccnz .LBB9_1652
; %bb.1651:
	global_load_dword v3, v[12:13], off
	s_waitcnt vmcnt(0)
	v_cvt_f32_f16_e32 v3, v3
	v_cvt_f64_f32_e32 v[16:17], v3
.LBB9_1652:
	s_mov_b64 s[0:1], 0
.LBB9_1653:
	s_andn2_b64 vcc, exec, s[0:1]
	s_cbranch_vccnz .LBB9_1664
; %bb.1654:
	v_mov_b32_e32 v3, 6
	v_cmp_lt_i16_sdwa s[0:1], s19, v3 src0_sel:BYTE_0 src1_sel:DWORD
	s_and_b64 vcc, exec, s[0:1]
	s_cbranch_vccnz .LBB9_1657
; %bb.1655:
	v_cmp_gt_i16_sdwa s[0:1], s19, v3 src0_sel:BYTE_0 src1_sel:DWORD
	s_and_b64 vcc, exec, s[0:1]
	s_cbranch_vccz .LBB9_1658
; %bb.1656:
	global_load_dwordx2 v[16:17], v[12:13], off
	s_mov_b64 s[0:1], 0
	s_branch .LBB9_1659
.LBB9_1657:
	s_mov_b64 s[0:1], -1
                                        ; implicit-def: $vgpr16_vgpr17
	s_branch .LBB9_1662
.LBB9_1658:
	s_mov_b64 s[0:1], -1
                                        ; implicit-def: $vgpr16_vgpr17
.LBB9_1659:
	s_andn2_b64 vcc, exec, s[0:1]
	s_cbranch_vccnz .LBB9_1661
; %bb.1660:
	global_load_dword v3, v[12:13], off
	s_waitcnt vmcnt(0)
	v_cvt_f64_f32_e32 v[16:17], v3
.LBB9_1661:
	s_mov_b64 s[0:1], 0
.LBB9_1662:
	s_andn2_b64 vcc, exec, s[0:1]
	s_cbranch_vccnz .LBB9_1664
; %bb.1663:
	global_load_ushort v3, v[12:13], off
	s_waitcnt vmcnt(0)
	v_cvt_f32_f16_e32 v3, v3
	v_cvt_f64_f32_e32 v[16:17], v3
.LBB9_1664:
	s_mov_b64 s[0:1], 0
.LBB9_1665:
	s_andn2_b64 vcc, exec, s[0:1]
	s_cbranch_vccnz .LBB9_1685
; %bb.1666:
	v_mov_b32_e32 v3, 2
	v_cmp_lt_i16_sdwa s[0:1], s19, v3 src0_sel:BYTE_0 src1_sel:DWORD
	s_and_b64 vcc, exec, s[0:1]
	s_cbranch_vccnz .LBB9_1670
; %bb.1667:
	v_mov_b32_e32 v3, 3
	v_cmp_lt_i16_sdwa s[0:1], s19, v3 src0_sel:BYTE_0 src1_sel:DWORD
	s_and_b64 vcc, exec, s[0:1]
	s_cbranch_vccnz .LBB9_1671
; %bb.1668:
	v_cmp_gt_i16_sdwa s[0:1], s19, v3 src0_sel:BYTE_0 src1_sel:DWORD
	s_and_b64 vcc, exec, s[0:1]
	s_cbranch_vccz .LBB9_1672
; %bb.1669:
	global_load_dwordx2 v[16:17], v[12:13], off
	s_mov_b64 s[0:1], 0
	s_waitcnt vmcnt(0)
	v_cvt_f64_i32_e32 v[18:19], v17
	v_cvt_f64_u32_e32 v[16:17], v16
	v_ldexp_f64 v[18:19], v[18:19], 32
	v_add_f64 v[16:17], v[18:19], v[16:17]
	s_branch .LBB9_1673
.LBB9_1670:
	s_mov_b64 s[0:1], -1
                                        ; implicit-def: $vgpr16_vgpr17
	s_branch .LBB9_1679
.LBB9_1671:
	s_mov_b64 s[0:1], -1
                                        ; implicit-def: $vgpr16_vgpr17
	s_branch .LBB9_1676
.LBB9_1672:
	s_mov_b64 s[0:1], -1
                                        ; implicit-def: $vgpr16_vgpr17
.LBB9_1673:
	s_andn2_b64 vcc, exec, s[0:1]
	s_cbranch_vccnz .LBB9_1675
; %bb.1674:
	global_load_dword v3, v[12:13], off
	s_waitcnt vmcnt(0)
	v_cvt_f64_i32_e32 v[16:17], v3
.LBB9_1675:
	s_mov_b64 s[0:1], 0
.LBB9_1676:
	s_andn2_b64 vcc, exec, s[0:1]
	s_cbranch_vccnz .LBB9_1678
; %bb.1677:
	global_load_sshort v3, v[12:13], off
	s_waitcnt vmcnt(0)
	v_cvt_f64_i32_e32 v[16:17], v3
.LBB9_1678:
	s_mov_b64 s[0:1], 0
.LBB9_1679:
	s_andn2_b64 vcc, exec, s[0:1]
	s_cbranch_vccnz .LBB9_1685
; %bb.1680:
	v_mov_b32_e32 v3, 0
	v_cmp_gt_i16_sdwa s[0:1], s19, v3 src0_sel:BYTE_0 src1_sel:DWORD
	s_and_b64 vcc, exec, s[0:1]
	s_cbranch_vccz .LBB9_1682
; %bb.1681:
	global_load_sbyte v3, v[12:13], off
	s_mov_b64 s[0:1], 0
	s_waitcnt vmcnt(0)
	v_cvt_f64_i32_e32 v[16:17], v3
	s_branch .LBB9_1683
.LBB9_1682:
	s_mov_b64 s[0:1], -1
                                        ; implicit-def: $vgpr16_vgpr17
.LBB9_1683:
	s_andn2_b64 vcc, exec, s[0:1]
	s_cbranch_vccnz .LBB9_1685
; %bb.1684:
	global_load_ubyte v3, v[12:13], off
	s_waitcnt vmcnt(0)
	v_cvt_f64_u32_e32 v[16:17], v3
.LBB9_1685:
	s_mov_b64 s[6:7], -1
.LBB9_1686:
	s_andn2_b64 vcc, exec, s[6:7]
	s_cbranch_vccnz .LBB9_1698
; %bb.1687:
	s_mov_b32 s0, 0
	s_mov_b32 s1, 0x40200000
	s_waitcnt vmcnt(0)
	v_cmp_le_f64_e64 s[0:1], |v[16:17]|, s[0:1]
                                        ; implicit-def: $vgpr12_vgpr13
	s_and_saveexec_b64 s[4:5], s[0:1]
	s_xor_b64 s[0:1], exec, s[4:5]
	s_cbranch_execz .LBB9_1689
; %bb.1688:
	s_mov_b32 s4, 0x2134d0ef
	v_fma_f64 v[12:13], |v[16:17]|, 0.5, -2.0
	v_mov_b32_e32 v18, 0x977da589
	v_mov_b32_e32 v19, 0x3c833362
	s_mov_b32 s5, 0xbc545cb7
	v_fmac_f64_e32 v[18:19], s[4:5], v[12:13]
	v_mov_b32_e32 v20, 0x2134d0ef
	v_mov_b32_e32 v21, 0x3c545cb7
	s_mov_b32 s4, 0x721ebbb4
	v_fmac_f64_e32 v[20:21], v[12:13], v[18:19]
	s_mov_b32 s5, 0xbcb184eb
	v_add_f64 v[20:21], v[20:21], s[4:5]
	s_mov_b32 s4, 0x93f65eba
	v_fma_f64 v[18:19], v[12:13], v[20:21], -v[18:19]
	s_mov_b32 s5, 0x3cdee6d8
	v_add_f64 v[18:19], v[18:19], s[4:5]
	s_mov_b32 s4, 0xc297fbeb
	v_fma_f64 v[20:21], v[12:13], v[18:19], -v[20:21]
	;; [unrolled: 4-line block ×27, first 2 shown]
	s_mov_b32 s5, 0x3fe5a84e
	v_add_f64 v[12:13], v[12:13], s[4:5]
	s_mov_b32 s4, 0x652b82fe
	s_mov_b32 s5, 0x3ff71547
	v_mul_f64 v[20:21], |v[16:17]|, s[4:5]
	s_mov_b32 s4, 0xfefa39ef
	v_rndne_f64_e32 v[20:21], v[20:21]
	s_mov_b32 s5, 0xbfe62e42
	v_fma_f64 v[22:23], v[20:21], s[4:5], |v[16:17]|
	s_mov_b32 s4, 0x3b39803f
	s_mov_b32 s5, 0xbc7abc9e
	v_fmac_f64_e32 v[22:23], s[4:5], v[20:21]
	s_mov_b32 s4, 0x6a5dcb37
	v_mov_b32_e32 v24, 0xfca7ab0c
	v_mov_b32_e32 v25, 0x3e928af3
	s_mov_b32 s5, 0x3e5ade15
	v_fmac_f64_e32 v[24:25], s[4:5], v[22:23]
	v_mov_b32_e32 v26, 0x623fde64
	v_mov_b32_e32 v27, 0x3ec71dee
	v_fmac_f64_e32 v[26:27], v[22:23], v[24:25]
	v_mov_b32_e32 v24, 0x7c89e6b0
	v_mov_b32_e32 v25, 0x3efa0199
	;; [unrolled: 3-line block ×8, first 2 shown]
	v_fmac_f64_e32 v[24:25], v[22:23], v[26:27]
	v_fma_f64 v[24:25], v[22:23], v[24:25], 1.0
	s_mov_b32 s4, 0
	v_fma_f64 v[22:23], v[22:23], v[24:25], 1.0
	v_cvt_i32_f64_e32 v3, v[20:21]
	s_mov_b32 s5, 0x40900000
	v_ldexp_f64 v[20:21], v[22:23], v3
	v_mov_b32_e32 v3, 0x7ff00000
	v_cmp_ngt_f64_e64 vcc, |v[16:17]|, s[4:5]
	v_add_f64 v[12:13], v[12:13], -v[18:19]
	v_cndmask_b32_e32 v17, v3, v21, vcc
	v_cndmask_b32_e32 v16, 0, v20, vcc
	v_mul_f64 v[12:13], v[12:13], 0.5
	v_mul_f64 v[12:13], v[16:17], v[12:13]
                                        ; implicit-def: $vgpr16_vgpr17
.LBB9_1689:
	s_andn2_saveexec_b64 s[0:1], s[0:1]
	s_cbranch_execz .LBB9_1691
; %bb.1690:
	s_mov_b32 s4, 0
	v_and_b32_e32 v13, 0x7fffffff, v17
	v_mov_b32_e32 v12, v16
	s_mov_b32 s5, 0x40400000
	v_div_scale_f64 v[18:19], s[6:7], v[12:13], v[12:13], s[4:5]
	v_rcp_f64_e32 v[20:21], v[18:19]
	v_div_scale_f64 v[12:13], vcc, s[4:5], v[12:13], s[4:5]
	v_mov_b32_e32 v24, 0xfca7ab0c
	v_fma_f64 v[22:23], -v[18:19], v[20:21], 1.0
	v_fmac_f64_e32 v[20:21], v[20:21], v[22:23]
	v_fma_f64 v[22:23], -v[18:19], v[20:21], 1.0
	v_fmac_f64_e32 v[20:21], v[20:21], v[22:23]
	v_mul_f64 v[22:23], v[12:13], v[20:21]
	v_fma_f64 v[12:13], -v[18:19], v[22:23], v[12:13]
	v_div_fmas_f64 v[12:13], v[12:13], v[20:21], v[22:23]
	v_div_fixup_f64 v[12:13], v[12:13], |v[16:17]|, s[4:5]
	s_mov_b32 s4, 0x54ca8b19
	v_add_f64 v[12:13], v[12:13], -2.0
	v_mov_b32_e32 v18, 0x66119130
	v_mov_b32_e32 v19, 0xbc5646da
	s_mov_b32 s5, 0xbc60adb7
	v_fmac_f64_e32 v[18:19], s[4:5], v[12:13]
	v_mov_b32_e32 v20, 0x54ca8b19
	v_mov_b32_e32 v21, 0x3c60adb7
	s_mov_b32 s4, 0x12d98421
	v_fmac_f64_e32 v[20:21], v[12:13], v[18:19]
	s_mov_b32 s5, 0x3c89be18
	v_add_f64 v[20:21], v[20:21], s[4:5]
	s_mov_b32 s4, 0x76041cd
	v_fma_f64 v[18:19], v[12:13], v[20:21], -v[18:19]
	s_mov_b32 s5, 0x3c83f3dd
	v_add_f64 v[18:19], v[18:19], s[4:5]
	s_mov_b32 s4, 0xabd21fe4
	v_fma_f64 v[20:21], v[12:13], v[18:19], -v[20:21]
	;; [unrolled: 4-line block ×22, first 2 shown]
	s_mov_b32 s5, 0x3fe9be62
	v_add_f64 v[12:13], v[12:13], s[4:5]
	s_mov_b32 s4, 0x652b82fe
	s_mov_b32 s5, 0x3ff71547
	v_mul_f64 v[18:19], |v[16:17]|, s[4:5]
	s_mov_b32 s4, 0xfefa39ef
	v_rndne_f64_e32 v[18:19], v[18:19]
	s_mov_b32 s5, 0xbfe62e42
	v_fma_f64 v[22:23], v[18:19], s[4:5], |v[16:17]|
	s_mov_b32 s4, 0x3b39803f
	s_mov_b32 s5, 0xbc7abc9e
	v_fmac_f64_e32 v[22:23], s[4:5], v[18:19]
	s_mov_b32 s4, 0x6a5dcb37
	v_mov_b32_e32 v25, 0x3e928af3
	s_mov_b32 s5, 0x3e5ade15
	v_fmac_f64_e32 v[24:25], s[4:5], v[22:23]
	v_mov_b32_e32 v26, 0x623fde64
	v_mov_b32_e32 v27, 0x3ec71dee
	v_fmac_f64_e32 v[26:27], v[22:23], v[24:25]
	v_mov_b32_e32 v24, 0x7c89e6b0
	v_mov_b32_e32 v25, 0x3efa0199
	;; [unrolled: 3-line block ×8, first 2 shown]
	v_fmac_f64_e32 v[24:25], v[22:23], v[26:27]
	s_mov_b32 s4, 0
	v_fma_f64 v[24:25], v[22:23], v[24:25], 1.0
	s_mov_b32 s5, 0x40900000
	v_fma_f64 v[22:23], v[22:23], v[24:25], 1.0
	v_cvt_i32_f64_e32 v3, v[18:19]
	v_cmp_ngt_f64_e64 vcc, |v[16:17]|, s[4:5]
	s_mov_b32 s4, 0
	v_ldexp_f64 v[18:19], v[22:23], v3
	v_mov_b32_e32 v3, 0x7ff00000
	s_brev_b32 s5, 8
	v_cndmask_b32_e32 v19, v3, v19, vcc
	v_cndmask_b32_e32 v18, 0, v18, vcc
	v_cmp_lt_f64_e64 vcc, |v[16:17]|, s[4:5]
	v_cndmask_b32_e64 v3, 0, 1, vcc
	v_lshlrev_b32_e32 v3, 8, v3
	v_ldexp_f64 v[16:17], |v[16:17]|, v3
	v_rsq_f64_e32 v[22:23], v[16:17]
	v_add_f64 v[12:13], v[12:13], -v[20:21]
	v_mul_f64 v[12:13], v[12:13], 0.5
	v_mul_f64 v[12:13], v[18:19], v[12:13]
	v_mul_f64 v[18:19], v[16:17], v[22:23]
	v_mul_f64 v[20:21], v[22:23], 0.5
	v_fma_f64 v[22:23], -v[20:21], v[18:19], 0.5
	v_fmac_f64_e32 v[18:19], v[18:19], v[22:23]
	v_fma_f64 v[24:25], -v[18:19], v[18:19], v[16:17]
	v_fmac_f64_e32 v[20:21], v[20:21], v[22:23]
	v_fmac_f64_e32 v[18:19], v[24:25], v[20:21]
	v_fma_f64 v[22:23], -v[18:19], v[18:19], v[16:17]
	v_mov_b32_e32 v3, 0xffffff80
	v_fmac_f64_e32 v[18:19], v[22:23], v[20:21]
	v_cndmask_b32_e32 v3, 0, v3, vcc
	v_ldexp_f64 v[18:19], v[18:19], v3
	v_mov_b32_e32 v3, 0x260
	v_cmp_class_f64_e32 vcc, v[16:17], v3
	v_cndmask_b32_e32 v17, v19, v17, vcc
	v_cndmask_b32_e32 v16, v18, v16, vcc
	v_div_scale_f64 v[18:19], s[4:5], v[16:17], v[16:17], v[12:13]
	v_rcp_f64_e32 v[20:21], v[18:19]
	v_fma_f64 v[22:23], -v[18:19], v[20:21], 1.0
	v_fmac_f64_e32 v[20:21], v[20:21], v[22:23]
	v_fma_f64 v[22:23], -v[18:19], v[20:21], 1.0
	v_fmac_f64_e32 v[20:21], v[20:21], v[22:23]
	v_div_scale_f64 v[22:23], vcc, v[12:13], v[16:17], v[12:13]
	v_mul_f64 v[24:25], v[22:23], v[20:21]
	v_fma_f64 v[18:19], -v[18:19], v[24:25], v[22:23]
	s_nop 1
	v_div_fmas_f64 v[18:19], v[18:19], v[20:21], v[24:25]
	v_div_fixup_f64 v[12:13], v[18:19], v[16:17], v[12:13]
.LBB9_1691:
	s_or_b64 exec, exec, s[0:1]
	s_lshr_b32 s14, s18, 8
	v_mov_b32_e32 v3, s9
	v_add_co_u32_e32 v16, vcc, s8, v2
	v_mov_b32_e32 v2, 11
	v_addc_co_u32_e32 v17, vcc, 0, v3, vcc
	v_cmp_lt_i16_sdwa s[0:1], s14, v2 src0_sel:BYTE_0 src1_sel:DWORD
	s_and_b64 vcc, exec, s[0:1]
	s_cbranch_vccnz .LBB9_1744
; %bb.1692:
	v_mov_b32_e32 v2, 25
	v_cmp_gt_i16_sdwa s[0:1], s14, v2 src0_sel:BYTE_0 src1_sel:DWORD
	s_mov_b64 s[10:11], -1
	s_mov_b64 s[4:5], 0
	s_and_b64 vcc, exec, s[0:1]
	s_mov_b64 s[6:7], 0
	s_mov_b64 s[0:1], 0
	s_cbranch_vccz .LBB9_1776
; %bb.1693:
	v_mov_b32_e32 v2, 28
	v_cmp_gt_i16_sdwa s[0:1], s14, v2 src0_sel:BYTE_0 src1_sel:DWORD
	s_and_b64 vcc, exec, s[0:1]
	s_cbranch_vccz .LBB9_1745
; %bb.1694:
	v_mov_b32_e32 v2, 43
	v_cmp_gt_i16_sdwa s[0:1], s14, v2 src0_sel:BYTE_0 src1_sel:DWORD
	s_and_b64 vcc, exec, s[0:1]
	;; [unrolled: 5-line block ×3, first 2 shown]
	s_cbranch_vccz .LBB9_1748
; %bb.1696:
	v_mov_b32_e32 v2, 46
	v_cmp_eq_u16_sdwa s[6:7], s14, v2 src0_sel:BYTE_0 src1_sel:DWORD
	s_mov_b64 s[0:1], -1
	s_mov_b64 s[10:11], 0
	s_and_b64 vcc, exec, s[6:7]
	s_mov_b64 s[6:7], 0
	s_cbranch_vccz .LBB9_1749
; %bb.1697:
	v_cvt_f32_f64_e32 v2, v[0:1]
	v_bfe_u32 v3, v2, 16, 1
	s_movk_i32 s0, 0x7fff
	v_add3_u32 v3, v2, v3, s0
	v_lshrrev_b32_e32 v3, 16, v3
	v_mov_b32_e32 v7, 0x7fc0
	v_cmp_o_f32_e32 vcc, v2, v2
	v_cndmask_b32_e32 v2, v7, v3, vcc
	global_store_dword v[16:17], v2, off
	s_mov_b64 s[0:1], 0
	s_mov_b64 s[6:7], -1
	s_branch .LBB9_1749
.LBB9_1698:
	s_mov_b64 s[0:1], 0
                                        ; implicit-def: $vgpr0_vgpr1
                                        ; implicit-def: $vgpr2
                                        ; implicit-def: $vgpr12_vgpr13
.LBB9_1699:
	s_mov_b64 s[4:5], 0
.LBB9_1700:
	s_and_b64 s[6:7], s[4:5], exec
	s_andn2_b64 s[4:5], s[28:29], exec
	s_and_b64 s[2:3], s[2:3], exec
	s_and_b64 s[0:1], s[0:1], exec
	s_or_b64 s[28:29], s[4:5], s[2:3]
.LBB9_1701:
	s_or_b64 exec, exec, s[30:31]
	s_and_saveexec_b64 s[2:3], s[28:29]
	s_cbranch_execz .LBB9_1704
; %bb.1702:
	; divergent unreachable
	s_or_b64 exec, exec, s[2:3]
	s_and_saveexec_b64 s[2:3], s[6:7]
	s_xor_b64 s[2:3], exec, s[2:3]
	s_cbranch_execnz .LBB9_1705
.LBB9_1703:
	s_or_b64 exec, exec, s[2:3]
	s_and_saveexec_b64 s[2:3], s[0:1]
	s_cbranch_execnz .LBB9_1706
	s_branch .LBB9_1743
.LBB9_1704:
	s_or_b64 exec, exec, s[2:3]
	s_and_saveexec_b64 s[2:3], s[6:7]
	s_xor_b64 s[2:3], exec, s[2:3]
	s_cbranch_execz .LBB9_1703
.LBB9_1705:
	v_cmp_neq_f64_e32 vcc, 0, v[12:13]
	v_cndmask_b32_e64 v3, 0, 1, vcc
	global_store_byte v[0:1], v3, off
	s_or_b64 exec, exec, s[2:3]
	s_and_saveexec_b64 s[2:3], s[0:1]
	s_cbranch_execz .LBB9_1743
.LBB9_1706:
	v_cmp_gt_i16_e32 vcc, 5, v2
	s_mov_b64 s[0:1], -1
	s_cbranch_vccnz .LBB9_1727
; %bb.1707:
	v_cmp_gt_i16_e32 vcc, 8, v2
	s_cbranch_vccnz .LBB9_1717
; %bb.1708:
	v_cmp_gt_i16_e32 vcc, 9, v2
	s_cbranch_vccnz .LBB9_1714
; %bb.1709:
	v_cmp_lt_i16_e32 vcc, 9, v2
	s_cbranch_vccz .LBB9_1711
; %bb.1710:
	v_mov_b32_e32 v14, 0
	v_mov_b32_e32 v15, v14
	global_store_dwordx4 v[0:1], v[12:15], off
	s_mov_b64 s[0:1], 0
.LBB9_1711:
	s_andn2_b64 vcc, exec, s[0:1]
	s_cbranch_vccnz .LBB9_1713
; %bb.1712:
	s_waitcnt vmcnt(0)
	v_cvt_f32_f64_e32 v4, v[12:13]
	v_mov_b32_e32 v5, 0
	global_store_dwordx2 v[0:1], v[4:5], off
.LBB9_1713:
	s_mov_b64 s[0:1], 0
.LBB9_1714:
	s_andn2_b64 vcc, exec, s[0:1]
	s_cbranch_vccnz .LBB9_1716
; %bb.1715:
	v_cvt_f32_f64_e32 v3, v[12:13]
	v_cvt_f16_f32_e32 v3, v3
	global_store_dword v[0:1], v3, off
.LBB9_1716:
	s_mov_b64 s[0:1], 0
.LBB9_1717:
	s_andn2_b64 vcc, exec, s[0:1]
	s_cbranch_vccnz .LBB9_1726
; %bb.1718:
	v_cmp_gt_i16_e32 vcc, 6, v2
	s_mov_b64 s[0:1], -1
	s_cbranch_vccnz .LBB9_1724
; %bb.1719:
	v_cmp_lt_i16_e32 vcc, 6, v2
	s_cbranch_vccz .LBB9_1721
; %bb.1720:
	global_store_dwordx2 v[0:1], v[12:13], off
	s_mov_b64 s[0:1], 0
.LBB9_1721:
	s_andn2_b64 vcc, exec, s[0:1]
	s_cbranch_vccnz .LBB9_1723
; %bb.1722:
	v_cvt_f32_f64_e32 v3, v[12:13]
	global_store_dword v[0:1], v3, off
.LBB9_1723:
	s_mov_b64 s[0:1], 0
.LBB9_1724:
	s_andn2_b64 vcc, exec, s[0:1]
	s_cbranch_vccnz .LBB9_1726
; %bb.1725:
	v_cvt_f32_f64_e32 v3, v[12:13]
	v_cvt_f16_f32_e32 v3, v3
	global_store_short v[0:1], v3, off
.LBB9_1726:
	s_mov_b64 s[0:1], 0
.LBB9_1727:
	s_andn2_b64 vcc, exec, s[0:1]
	s_cbranch_vccnz .LBB9_1743
; %bb.1728:
	v_cmp_gt_i16_e32 vcc, 2, v2
	s_mov_b64 s[0:1], -1
	s_cbranch_vccnz .LBB9_1738
; %bb.1729:
	v_cmp_gt_i16_e32 vcc, 3, v2
	s_cbranch_vccnz .LBB9_1735
; %bb.1730:
	v_cmp_lt_i16_e32 vcc, 3, v2
	s_cbranch_vccz .LBB9_1732
; %bb.1731:
	s_waitcnt vmcnt(0)
	v_trunc_f64_e32 v[4:5], v[12:13]
	s_movk_i32 s0, 0xffe0
	v_ldexp_f64 v[6:7], v[4:5], s0
	v_floor_f64_e32 v[6:7], v[6:7]
	v_fmac_f64_e32 v[4:5], 0xc1f00000, v[6:7]
	v_cvt_i32_f64_e32 v9, v[6:7]
	v_cvt_u32_f64_e32 v8, v[4:5]
	global_store_dwordx2 v[0:1], v[8:9], off
	s_mov_b64 s[0:1], 0
.LBB9_1732:
	s_andn2_b64 vcc, exec, s[0:1]
	s_cbranch_vccnz .LBB9_1734
; %bb.1733:
	v_cvt_i32_f64_e32 v3, v[12:13]
	global_store_dword v[0:1], v3, off
.LBB9_1734:
	s_mov_b64 s[0:1], 0
.LBB9_1735:
	s_andn2_b64 vcc, exec, s[0:1]
	s_cbranch_vccnz .LBB9_1737
; %bb.1736:
	v_cvt_i32_f64_e32 v3, v[12:13]
	global_store_short v[0:1], v3, off
.LBB9_1737:
	s_mov_b64 s[0:1], 0
.LBB9_1738:
	s_andn2_b64 vcc, exec, s[0:1]
	s_cbranch_vccnz .LBB9_1743
; %bb.1739:
	v_cmp_lt_i16_e32 vcc, 0, v2
	s_mov_b64 s[0:1], -1
	s_cbranch_vccz .LBB9_1741
; %bb.1740:
	v_cvt_i32_f64_e32 v2, v[12:13]
	global_store_byte v[0:1], v2, off
	s_mov_b64 s[0:1], 0
.LBB9_1741:
	s_andn2_b64 vcc, exec, s[0:1]
	s_cbranch_vccnz .LBB9_1743
; %bb.1742:
	v_trunc_f64_e32 v[2:3], v[12:13]
	s_movk_i32 s0, 0xffe0
	s_waitcnt vmcnt(0)
	v_ldexp_f64 v[4:5], v[2:3], s0
	v_floor_f64_e32 v[4:5], v[4:5]
	v_fmac_f64_e32 v[2:3], 0xc1f00000, v[4:5]
	v_cvt_u32_f64_e32 v2, v[2:3]
	global_store_byte v[0:1], v2, off
	s_endpgm
.LBB9_1743:
	s_endpgm
.LBB9_1744:
	s_mov_b64 s[0:1], -1
	s_mov_b64 s[6:7], 0
	s_branch .LBB9_1820
.LBB9_1745:
	s_mov_b64 s[0:1], 0
	s_branch .LBB9_1759
.LBB9_1746:
	s_mov_b64 s[0:1], 0
	s_branch .LBB9_1755
.LBB9_1747:
	s_trap 2
	s_or_b64 s[2:3], s[2:3], exec
                                        ; implicit-def: $vgpr16_vgpr17
	s_cbranch_execz .LBB9_1635
	s_branch .LBB9_1636
.LBB9_1748:
	s_mov_b64 s[0:1], 0
.LBB9_1749:
	s_and_b64 vcc, exec, s[10:11]
	s_cbranch_vccz .LBB9_1754
; %bb.1750:
	v_mov_b32_e32 v2, 44
	v_cmp_eq_u16_sdwa s[10:11], s14, v2 src0_sel:BYTE_0 src1_sel:DWORD
	s_mov_b64 s[0:1], -1
	s_and_b64 vcc, exec, s[10:11]
	s_cbranch_vccz .LBB9_1754
; %bb.1751:
	v_cvt_f32_f64_e32 v2, v[0:1]
	v_bfe_u32 v3, v2, 23, 8
	s_movk_i32 s0, 0xff
	v_cmp_ne_u32_e32 vcc, s0, v3
	v_mov_b32_e32 v7, 0xff
	s_and_saveexec_b64 s[6:7], vcc
; %bb.1752:
	s_mov_b32 s0, 0x3fffff
	v_lshrrev_b32_e32 v7, 23, v2
	v_and_b32_e32 v11, 0x400000, v2
	v_and_or_b32 v2, v2, s0, v3
	v_cmp_ne_u32_e32 vcc, 0, v11
	v_cmp_ne_u32_e64 s[0:1], 0, v2
	s_and_b64 s[0:1], vcc, s[0:1]
	v_cndmask_b32_e64 v2, 0, 1, s[0:1]
	v_add_u32_e32 v7, v7, v2
; %bb.1753:
	s_or_b64 exec, exec, s[6:7]
	s_mov_b64 s[0:1], 0
	s_mov_b64 s[6:7], -1
	global_store_byte v[16:17], v7, off
.LBB9_1754:
	s_mov_b64 s[10:11], 0
.LBB9_1755:
	s_and_b64 vcc, exec, s[10:11]
	s_cbranch_vccz .LBB9_1758
; %bb.1756:
	v_mov_b32_e32 v2, 29
	v_cmp_eq_u16_sdwa s[10:11], s14, v2 src0_sel:BYTE_0 src1_sel:DWORD
	s_mov_b64 s[0:1], -1
	s_and_b64 vcc, exec, s[10:11]
	s_cbranch_vccz .LBB9_1758
; %bb.1757:
	v_trunc_f64_e32 v[2:3], v[0:1]
	s_movk_i32 s0, 0xffe0
	v_ldexp_f64 v[18:19], v[2:3], s0
	v_floor_f64_e32 v[18:19], v[18:19]
	v_fmac_f64_e32 v[2:3], 0xc1f00000, v[18:19]
	v_cvt_u32_f64_e32 v21, v[18:19]
	v_cvt_u32_f64_e32 v20, v[2:3]
	global_store_dwordx2 v[16:17], v[20:21], off
	s_mov_b64 s[0:1], 0
	s_mov_b64 s[6:7], -1
.LBB9_1758:
	s_mov_b64 s[10:11], 0
.LBB9_1759:
	s_and_b64 vcc, exec, s[10:11]
	s_cbranch_vccz .LBB9_1775
; %bb.1760:
	v_mov_b32_e32 v2, 27
	v_cmp_lt_i16_sdwa s[10:11], s14, v2 src0_sel:BYTE_0 src1_sel:DWORD
	s_mov_b64 s[6:7], -1
	s_and_b64 vcc, exec, s[10:11]
	s_cbranch_vccnz .LBB9_1766
; %bb.1761:
	v_cmp_gt_i16_sdwa s[10:11], s14, v2 src0_sel:BYTE_0 src1_sel:DWORD
	s_and_b64 vcc, exec, s[10:11]
	v_cvt_u32_f64_e32 v2, v[0:1]
	s_cbranch_vccz .LBB9_1763
; %bb.1762:
	s_mov_b64 s[6:7], 0
	global_store_dword v[16:17], v2, off
.LBB9_1763:
	s_andn2_b64 vcc, exec, s[6:7]
	s_cbranch_vccnz .LBB9_1765
; %bb.1764:
	global_store_short v[16:17], v2, off
.LBB9_1765:
	s_mov_b64 s[6:7], 0
.LBB9_1766:
	s_andn2_b64 vcc, exec, s[6:7]
	s_cbranch_vccnz .LBB9_1774
; %bb.1767:
	v_cvt_f32_f64_e32 v2, v[0:1]
	v_and_b32_e32 v3, 0x7fffffff, v2
	s_mov_b32 s6, 0x43800000
	v_cmp_gt_u32_e32 vcc, s6, v3
	v_mov_b32_e32 v7, 0x80
	s_and_saveexec_b64 s[6:7], vcc
	s_cbranch_execz .LBB9_1773
; %bb.1768:
	s_mov_b32 s10, 0x3bffffff
	v_cmp_lt_u32_e32 vcc, s10, v3
	s_mov_b64 s[10:11], 0
                                        ; implicit-def: $vgpr3
	s_and_saveexec_b64 s[12:13], vcc
	s_xor_b64 s[12:13], exec, s[12:13]
	s_cbranch_execz .LBB9_1869
; %bb.1769:
	v_bfe_u32 v3, v2, 20, 1
	s_mov_b32 s15, 0x487ffff
	v_add3_u32 v3, v2, v3, s15
	s_mov_b64 s[10:11], exec
	v_lshrrev_b32_e32 v3, 20, v3
	s_or_saveexec_b64 s[12:13], s[12:13]
                                        ; implicit-def: $sgpr15
	s_xor_b64 exec, exec, s[12:13]
	s_cbranch_execnz .LBB9_1870
.LBB9_1770:
	s_or_b64 exec, exec, s[12:13]
	v_mov_b32_e32 v7, s15
	s_and_saveexec_b64 s[12:13], s[10:11]
.LBB9_1771:
	v_lshrrev_b32_e32 v2, 24, v2
	s_movk_i32 s10, 0x80
	v_and_or_b32 v7, v2, s10, v3
.LBB9_1772:
	s_or_b64 exec, exec, s[12:13]
.LBB9_1773:
	s_or_b64 exec, exec, s[6:7]
	global_store_byte v[16:17], v7, off
.LBB9_1774:
	s_mov_b64 s[6:7], -1
.LBB9_1775:
	s_mov_b64 s[10:11], 0
.LBB9_1776:
	s_and_b64 vcc, exec, s[10:11]
	s_cbranch_vccz .LBB9_1816
; %bb.1777:
	v_mov_b32_e32 v2, 22
	v_cmp_gt_i16_sdwa s[10:11], s14, v2 src0_sel:BYTE_0 src1_sel:DWORD
	s_mov_b64 s[4:5], -1
	s_and_b64 vcc, exec, s[10:11]
	s_cbranch_vccz .LBB9_1809
; %bb.1778:
	v_mov_b32_e32 v2, 24
	v_cmp_lt_i16_sdwa s[6:7], s14, v2 src0_sel:BYTE_0 src1_sel:DWORD
	s_and_b64 vcc, exec, s[6:7]
	s_cbranch_vccnz .LBB9_1798
; %bb.1779:
	v_cmp_gt_i16_sdwa s[6:7], s14, v2 src0_sel:BYTE_0 src1_sel:DWORD
	s_and_b64 vcc, exec, s[6:7]
	s_cbranch_vccz .LBB9_1787
; %bb.1780:
	v_cvt_f32_f64_e32 v2, v[0:1]
	v_and_b32_e32 v3, 0x7fffffff, v2
	s_mov_b32 s4, 0x47800000
	v_cmp_gt_u32_e32 vcc, s4, v3
	v_mov_b32_e32 v7, 0x80
	s_and_saveexec_b64 s[4:5], vcc
	s_cbranch_execz .LBB9_1786
; %bb.1781:
	s_mov_b32 s6, 0x37ffffff
	v_cmp_lt_u32_e32 vcc, s6, v3
	s_mov_b64 s[6:7], 0
                                        ; implicit-def: $vgpr3
	s_and_saveexec_b64 s[10:11], vcc
	s_xor_b64 s[10:11], exec, s[10:11]
	s_cbranch_execz .LBB9_1873
; %bb.1782:
	v_bfe_u32 v3, v2, 21, 1
	s_mov_b32 s12, 0x88fffff
	v_add3_u32 v3, v2, v3, s12
	s_mov_b64 s[6:7], exec
	v_lshrrev_b32_e32 v3, 21, v3
	s_or_saveexec_b64 s[10:11], s[10:11]
                                        ; implicit-def: $sgpr12
	s_xor_b64 exec, exec, s[10:11]
	s_cbranch_execnz .LBB9_1874
.LBB9_1783:
	s_or_b64 exec, exec, s[10:11]
	v_mov_b32_e32 v7, s12
	s_and_saveexec_b64 s[10:11], s[6:7]
.LBB9_1784:
	v_lshrrev_b32_e32 v2, 24, v2
	s_movk_i32 s6, 0x80
	v_and_or_b32 v7, v2, s6, v3
.LBB9_1785:
	s_or_b64 exec, exec, s[10:11]
.LBB9_1786:
	s_or_b64 exec, exec, s[4:5]
	s_mov_b64 s[4:5], 0
	global_store_byte v[16:17], v7, off
.LBB9_1787:
	s_and_b64 vcc, exec, s[4:5]
	s_cbranch_vccz .LBB9_1797
; %bb.1788:
	v_cvt_f32_f64_e32 v2, v[0:1]
	v_and_b32_e32 v7, 0x7fffffff, v2
	s_mov_b32 s4, 0x43f00000
	v_cmp_gt_u32_e32 vcc, s4, v7
                                        ; implicit-def: $vgpr3
	s_and_saveexec_b64 s[4:5], vcc
	s_xor_b64 s[4:5], exec, s[4:5]
	s_cbranch_execz .LBB9_1794
; %bb.1789:
	s_mov_b32 s6, 0x3c7fffff
	v_cmp_lt_u32_e32 vcc, s6, v7
                                        ; implicit-def: $vgpr3
	s_and_saveexec_b64 s[6:7], vcc
	s_xor_b64 s[6:7], exec, s[6:7]
; %bb.1790:
	v_bfe_u32 v3, v2, 20, 1
	s_mov_b32 s10, 0x407ffff
	v_add3_u32 v3, v2, v3, s10
	v_lshrrev_b32_e32 v7, 20, v3
	v_and_b32_e32 v3, 0xff00000, v3
	s_mov_b32 s10, 0x7f00000
	v_mov_b32_e32 v11, 0x7e
	v_cmp_ne_u32_e32 vcc, s10, v3
	v_cndmask_b32_e32 v3, v11, v7, vcc
; %bb.1791:
	s_andn2_saveexec_b64 s[6:7], s[6:7]
; %bb.1792:
	s_mov_b32 s10, 0x46800000
	v_add_f32_e64 v3, |v2|, s10
; %bb.1793:
	s_or_b64 exec, exec, s[6:7]
                                        ; implicit-def: $vgpr7
.LBB9_1794:
	s_andn2_saveexec_b64 s[4:5], s[4:5]
; %bb.1795:
	s_mov_b32 s6, 0x7f800000
	v_mov_b32_e32 v3, 0x7e
	v_mov_b32_e32 v11, 0x7f
	v_cmp_lt_u32_e32 vcc, s6, v7
	v_cndmask_b32_e32 v3, v3, v11, vcc
; %bb.1796:
	s_or_b64 exec, exec, s[4:5]
	v_lshrrev_b32_e32 v2, 24, v2
	s_movk_i32 s4, 0x80
	v_and_or_b32 v2, v2, s4, v3
	global_store_byte v[16:17], v2, off
.LBB9_1797:
	s_mov_b64 s[4:5], 0
.LBB9_1798:
	s_andn2_b64 vcc, exec, s[4:5]
	s_cbranch_vccnz .LBB9_1808
; %bb.1799:
	v_cvt_f32_f64_e32 v2, v[0:1]
	v_and_b32_e32 v7, 0x7fffffff, v2
	s_mov_b32 s4, 0x47800000
	v_cmp_gt_u32_e32 vcc, s4, v7
                                        ; implicit-def: $vgpr3
	s_and_saveexec_b64 s[4:5], vcc
	s_xor_b64 s[4:5], exec, s[4:5]
	s_cbranch_execz .LBB9_1805
; %bb.1800:
	s_mov_b32 s6, 0x387fffff
	v_cmp_lt_u32_e32 vcc, s6, v7
                                        ; implicit-def: $vgpr3
	s_and_saveexec_b64 s[6:7], vcc
	s_xor_b64 s[6:7], exec, s[6:7]
; %bb.1801:
	v_bfe_u32 v3, v2, 21, 1
	s_mov_b32 s10, 0x80fffff
	v_add3_u32 v3, v2, v3, s10
	v_lshrrev_b32_e32 v3, 21, v3
; %bb.1802:
	s_andn2_saveexec_b64 s[6:7], s[6:7]
; %bb.1803:
	s_mov_b32 s10, 0x43000000
	v_add_f32_e64 v3, |v2|, s10
; %bb.1804:
	s_or_b64 exec, exec, s[6:7]
                                        ; implicit-def: $vgpr7
.LBB9_1805:
	s_andn2_saveexec_b64 s[4:5], s[4:5]
; %bb.1806:
	s_mov_b32 s6, 0x7f800000
	v_mov_b32_e32 v3, 0x7c
	v_mov_b32_e32 v11, 0x7f
	v_cmp_lt_u32_e32 vcc, s6, v7
	v_cndmask_b32_e32 v3, v3, v11, vcc
; %bb.1807:
	s_or_b64 exec, exec, s[4:5]
	v_lshrrev_b32_e32 v2, 24, v2
	s_movk_i32 s4, 0x80
	v_and_or_b32 v2, v2, s4, v3
	global_store_byte v[16:17], v2, off
.LBB9_1808:
	s_mov_b64 s[4:5], 0
	s_mov_b64 s[6:7], -1
.LBB9_1809:
	s_andn2_b64 vcc, exec, s[4:5]
	s_mov_b64 s[4:5], 0
	s_cbranch_vccnz .LBB9_1816
; %bb.1810:
	v_mov_b32_e32 v2, 14
	v_cmp_gt_i16_sdwa s[4:5], s14, v2 src0_sel:BYTE_0 src1_sel:DWORD
	s_mov_b64 s[10:11], -1
	s_and_b64 vcc, exec, s[4:5]
	s_cbranch_vccz .LBB9_1814
; %bb.1811:
	v_mov_b32_e32 v2, 15
	v_cmp_eq_u16_sdwa s[4:5], s14, v2 src0_sel:BYTE_0 src1_sel:DWORD
	s_mov_b64 s[0:1], -1
	s_and_b64 vcc, exec, s[4:5]
	s_cbranch_vccz .LBB9_1813
; %bb.1812:
	v_cvt_f32_f64_e32 v2, v[0:1]
	v_bfe_u32 v3, v2, 16, 1
	s_movk_i32 s0, 0x7fff
	v_add3_u32 v3, v2, v3, s0
	v_lshrrev_b32_e32 v3, 16, v3
	v_mov_b32_e32 v7, 0x7fc0
	v_cmp_o_f32_e32 vcc, v2, v2
	v_cndmask_b32_e32 v2, v7, v3, vcc
	global_store_short v[16:17], v2, off
	s_mov_b64 s[0:1], 0
	s_mov_b64 s[6:7], -1
.LBB9_1813:
	s_mov_b64 s[10:11], 0
.LBB9_1814:
	s_mov_b64 s[4:5], 0
	s_and_b64 vcc, exec, s[10:11]
	s_cbranch_vccz .LBB9_1816
; %bb.1815:
	v_mov_b32_e32 v2, 11
	v_cmp_ne_u16_sdwa s[0:1], s14, v2 src0_sel:BYTE_0 src1_sel:DWORD
	s_mov_b64 s[4:5], -1
.LBB9_1816:
	s_and_b64 vcc, exec, s[0:1]
	s_cbranch_vccnz .LBB9_1872
; %bb.1817:
	s_andn2_b64 vcc, exec, s[4:5]
	s_cbranch_vccnz .LBB9_1819
.LBB9_1818:
	v_cmp_neq_f64_e32 vcc, 0, v[0:1]
	v_cndmask_b32_e64 v2, 0, 1, vcc
	s_mov_b64 s[6:7], -1
	global_store_byte v[16:17], v2, off
.LBB9_1819:
	s_mov_b64 s[0:1], 0
.LBB9_1820:
	s_and_b64 vcc, exec, s[0:1]
	s_cbranch_vccz .LBB9_1859
; %bb.1821:
	v_mov_b32_e32 v2, 5
	v_cmp_lt_i16_sdwa s[4:5], s14, v2 src0_sel:BYTE_0 src1_sel:DWORD
	s_mov_b64 s[0:1], -1
	s_and_b64 vcc, exec, s[4:5]
	s_cbranch_vccnz .LBB9_1842
; %bb.1822:
	v_mov_b32_e32 v2, 8
	v_cmp_lt_i16_sdwa s[4:5], s14, v2 src0_sel:BYTE_0 src1_sel:DWORD
	s_and_b64 vcc, exec, s[4:5]
	s_cbranch_vccnz .LBB9_1832
; %bb.1823:
	v_mov_b32_e32 v2, 9
	v_cmp_lt_i16_sdwa s[4:5], s14, v2 src0_sel:BYTE_0 src1_sel:DWORD
	s_and_b64 vcc, exec, s[4:5]
	s_cbranch_vccnz .LBB9_1829
; %bb.1824:
	v_cmp_gt_i16_sdwa s[4:5], s14, v2 src0_sel:BYTE_0 src1_sel:DWORD
	s_and_b64 vcc, exec, s[4:5]
	s_cbranch_vccz .LBB9_1826
; %bb.1825:
	v_mov_b32_e32 v2, 0
	v_mov_b32_e32 v3, v2
	global_store_dwordx4 v[16:17], v[0:3], off
	s_mov_b64 s[0:1], 0
.LBB9_1826:
	s_andn2_b64 vcc, exec, s[0:1]
	s_cbranch_vccnz .LBB9_1828
; %bb.1827:
	v_cvt_f32_f64_e32 v2, v[0:1]
	v_mov_b32_e32 v3, 0
	global_store_dwordx2 v[16:17], v[2:3], off
.LBB9_1828:
	s_mov_b64 s[0:1], 0
.LBB9_1829:
	s_andn2_b64 vcc, exec, s[0:1]
	s_cbranch_vccnz .LBB9_1831
; %bb.1830:
	v_cvt_f32_f64_e32 v2, v[0:1]
	v_cvt_f16_f32_e32 v2, v2
	global_store_dword v[16:17], v2, off
.LBB9_1831:
	s_mov_b64 s[0:1], 0
.LBB9_1832:
	s_andn2_b64 vcc, exec, s[0:1]
	s_cbranch_vccnz .LBB9_1841
; %bb.1833:
	v_mov_b32_e32 v2, 6
	v_cmp_lt_i16_sdwa s[4:5], s14, v2 src0_sel:BYTE_0 src1_sel:DWORD
	s_mov_b64 s[0:1], -1
	s_and_b64 vcc, exec, s[4:5]
	s_cbranch_vccnz .LBB9_1839
; %bb.1834:
	v_cmp_gt_i16_sdwa s[4:5], s14, v2 src0_sel:BYTE_0 src1_sel:DWORD
	s_and_b64 vcc, exec, s[4:5]
	s_cbranch_vccz .LBB9_1836
; %bb.1835:
	global_store_dwordx2 v[16:17], v[0:1], off
	s_mov_b64 s[0:1], 0
.LBB9_1836:
	s_andn2_b64 vcc, exec, s[0:1]
	s_cbranch_vccnz .LBB9_1838
; %bb.1837:
	v_cvt_f32_f64_e32 v2, v[0:1]
	global_store_dword v[16:17], v2, off
.LBB9_1838:
	s_mov_b64 s[0:1], 0
.LBB9_1839:
	s_andn2_b64 vcc, exec, s[0:1]
	s_cbranch_vccnz .LBB9_1841
; %bb.1840:
	v_cvt_f32_f64_e32 v2, v[0:1]
	v_cvt_f16_f32_e32 v2, v2
	global_store_short v[16:17], v2, off
.LBB9_1841:
	s_mov_b64 s[0:1], 0
.LBB9_1842:
	s_andn2_b64 vcc, exec, s[0:1]
	s_cbranch_vccnz .LBB9_1858
; %bb.1843:
	v_mov_b32_e32 v2, 2
	v_cmp_lt_i16_sdwa s[4:5], s14, v2 src0_sel:BYTE_0 src1_sel:DWORD
	s_mov_b64 s[0:1], -1
	s_and_b64 vcc, exec, s[4:5]
	s_cbranch_vccnz .LBB9_1853
; %bb.1844:
	v_mov_b32_e32 v2, 3
	v_cmp_lt_i16_sdwa s[4:5], s14, v2 src0_sel:BYTE_0 src1_sel:DWORD
	s_and_b64 vcc, exec, s[4:5]
	s_cbranch_vccnz .LBB9_1850
; %bb.1845:
	v_cmp_gt_i16_sdwa s[4:5], s14, v2 src0_sel:BYTE_0 src1_sel:DWORD
	s_and_b64 vcc, exec, s[4:5]
	s_cbranch_vccz .LBB9_1847
; %bb.1846:
	v_trunc_f64_e32 v[2:3], v[0:1]
	s_movk_i32 s0, 0xffe0
	v_ldexp_f64 v[18:19], v[2:3], s0
	v_floor_f64_e32 v[18:19], v[18:19]
	v_fmac_f64_e32 v[2:3], 0xc1f00000, v[18:19]
	v_cvt_i32_f64_e32 v21, v[18:19]
	v_cvt_u32_f64_e32 v20, v[2:3]
	global_store_dwordx2 v[16:17], v[20:21], off
	s_mov_b64 s[0:1], 0
.LBB9_1847:
	s_andn2_b64 vcc, exec, s[0:1]
	s_cbranch_vccnz .LBB9_1849
; %bb.1848:
	v_cvt_i32_f64_e32 v2, v[0:1]
	global_store_dword v[16:17], v2, off
.LBB9_1849:
	s_mov_b64 s[0:1], 0
.LBB9_1850:
	s_andn2_b64 vcc, exec, s[0:1]
	s_cbranch_vccnz .LBB9_1852
; %bb.1851:
	v_cvt_i32_f64_e32 v2, v[0:1]
	global_store_short v[16:17], v2, off
.LBB9_1852:
	s_mov_b64 s[0:1], 0
.LBB9_1853:
	s_andn2_b64 vcc, exec, s[0:1]
	s_cbranch_vccnz .LBB9_1858
; %bb.1854:
	v_mov_b32_e32 v2, 0
	v_cmp_gt_i16_sdwa s[4:5], s14, v2 src0_sel:BYTE_0 src1_sel:DWORD
	s_mov_b64 s[0:1], -1
	s_and_b64 vcc, exec, s[4:5]
	s_cbranch_vccz .LBB9_1856
; %bb.1855:
	v_cvt_i32_f64_e32 v2, v[0:1]
	global_store_byte v[16:17], v2, off
	s_mov_b64 s[0:1], 0
.LBB9_1856:
	s_andn2_b64 vcc, exec, s[0:1]
	s_cbranch_vccnz .LBB9_1858
; %bb.1857:
	v_trunc_f64_e32 v[0:1], v[0:1]
	s_movk_i32 s0, 0xffe0
	v_ldexp_f64 v[2:3], v[0:1], s0
	v_floor_f64_e32 v[2:3], v[2:3]
	v_fmac_f64_e32 v[0:1], 0xc1f00000, v[2:3]
	v_cvt_u32_f64_e32 v0, v[0:1]
	global_store_byte v[16:17], v0, off
.LBB9_1858:
	s_mov_b64 s[6:7], -1
.LBB9_1859:
	s_andn2_b64 vcc, exec, s[6:7]
	s_cbranch_vccnz .LBB9_2190
; %bb.1860:
	v_mov_b32_e32 v1, s9
	v_add_co_u32_e32 v0, vcc, s8, v6
	v_mov_b32_e32 v2, 11
	v_addc_co_u32_e32 v1, vcc, 0, v1, vcc
	v_cmp_lt_i16_sdwa s[0:1], s14, v2 src0_sel:BYTE_0 src1_sel:DWORD
	s_and_b64 vcc, exec, s[0:1]
	s_cbranch_vccnz .LBB9_1867
; %bb.1861:
	v_mov_b32_e32 v2, 25
	v_cmp_gt_i16_sdwa s[0:1], s14, v2 src0_sel:BYTE_0 src1_sel:DWORD
	s_mov_b64 s[10:11], -1
	s_mov_b64 s[4:5], 0
	s_and_b64 vcc, exec, s[0:1]
	s_mov_b64 s[6:7], 0
	s_mov_b64 s[0:1], 0
	s_cbranch_vccz .LBB9_1903
; %bb.1862:
	v_mov_b32_e32 v2, 28
	v_cmp_gt_i16_sdwa s[0:1], s14, v2 src0_sel:BYTE_0 src1_sel:DWORD
	s_and_b64 vcc, exec, s[0:1]
	s_cbranch_vccz .LBB9_1868
; %bb.1863:
	v_mov_b32_e32 v2, 43
	v_cmp_gt_i16_sdwa s[0:1], s14, v2 src0_sel:BYTE_0 src1_sel:DWORD
	s_and_b64 vcc, exec, s[0:1]
	;; [unrolled: 5-line block ×3, first 2 shown]
	s_cbranch_vccz .LBB9_1875
; %bb.1865:
	v_mov_b32_e32 v2, 46
	v_cmp_eq_u16_sdwa s[6:7], s14, v2 src0_sel:BYTE_0 src1_sel:DWORD
	s_mov_b64 s[0:1], -1
	s_mov_b64 s[10:11], 0
	s_and_b64 vcc, exec, s[6:7]
	s_mov_b64 s[6:7], 0
	s_cbranch_vccz .LBB9_1876
; %bb.1866:
	v_cvt_f32_f64_e32 v2, v[4:5]
	v_bfe_u32 v3, v2, 16, 1
	s_movk_i32 s0, 0x7fff
	v_add3_u32 v3, v2, v3, s0
	v_lshrrev_b32_e32 v3, 16, v3
	v_mov_b32_e32 v6, 0x7fc0
	v_cmp_o_f32_e32 vcc, v2, v2
	v_cndmask_b32_e32 v2, v6, v3, vcc
	global_store_dword v[0:1], v2, off
	s_mov_b64 s[0:1], 0
	s_mov_b64 s[6:7], -1
	s_branch .LBB9_1876
.LBB9_1867:
	s_mov_b64 s[0:1], -1
	s_mov_b64 s[6:7], 0
	s_branch .LBB9_1947
.LBB9_1868:
	s_mov_b64 s[0:1], 0
	s_branch .LBB9_1886
.LBB9_1869:
	s_or_saveexec_b64 s[12:13], s[12:13]
                                        ; implicit-def: $sgpr15
	s_xor_b64 exec, exec, s[12:13]
	s_cbranch_execz .LBB9_1770
.LBB9_1870:
	s_mov_b32 s15, 0x46000000
	v_add_f32_e64 v3, |v2|, s15
	v_and_b32_e32 v3, 0xff, v3
	v_cmp_ne_u32_e32 vcc, 0, v3
	s_andn2_b64 s[10:11], s[10:11], exec
	s_and_b64 s[16:17], vcc, exec
	s_mov_b32 s15, 0
	s_or_b64 s[10:11], s[10:11], s[16:17]
	s_or_b64 exec, exec, s[12:13]
	v_mov_b32_e32 v7, s15
	s_and_saveexec_b64 s[12:13], s[10:11]
	s_cbranch_execnz .LBB9_1771
	s_branch .LBB9_1772
.LBB9_1871:
	s_mov_b64 s[0:1], 0
	s_branch .LBB9_1882
.LBB9_1872:
	s_trap 2
	s_or_b64 s[2:3], s[2:3], exec
	s_cbranch_execz .LBB9_1818
	s_branch .LBB9_1819
.LBB9_1873:
	s_or_saveexec_b64 s[10:11], s[10:11]
                                        ; implicit-def: $sgpr12
	s_xor_b64 exec, exec, s[10:11]
	s_cbranch_execz .LBB9_1783
.LBB9_1874:
	s_mov_b32 s12, 0x42800000
	v_add_f32_e64 v3, |v2|, s12
	v_and_b32_e32 v3, 0xff, v3
	v_cmp_ne_u32_e32 vcc, 0, v3
	s_andn2_b64 s[6:7], s[6:7], exec
	s_and_b64 s[16:17], vcc, exec
	s_mov_b32 s12, 0
	s_or_b64 s[6:7], s[6:7], s[16:17]
	s_or_b64 exec, exec, s[10:11]
	v_mov_b32_e32 v7, s12
	s_and_saveexec_b64 s[10:11], s[6:7]
	s_cbranch_execnz .LBB9_1784
	s_branch .LBB9_1785
.LBB9_1875:
	s_mov_b64 s[0:1], 0
.LBB9_1876:
	s_and_b64 vcc, exec, s[10:11]
	s_cbranch_vccz .LBB9_1881
; %bb.1877:
	v_mov_b32_e32 v2, 44
	v_cmp_eq_u16_sdwa s[10:11], s14, v2 src0_sel:BYTE_0 src1_sel:DWORD
	s_mov_b64 s[0:1], -1
	s_and_b64 vcc, exec, s[10:11]
	s_cbranch_vccz .LBB9_1881
; %bb.1878:
	v_cvt_f32_f64_e32 v2, v[4:5]
	v_bfe_u32 v3, v2, 23, 8
	s_movk_i32 s0, 0xff
	v_cmp_ne_u32_e32 vcc, s0, v3
	v_mov_b32_e32 v6, 0xff
	s_and_saveexec_b64 s[6:7], vcc
; %bb.1879:
	s_mov_b32 s0, 0x3fffff
	v_lshrrev_b32_e32 v6, 23, v2
	v_and_b32_e32 v7, 0x400000, v2
	v_and_or_b32 v2, v2, s0, v3
	v_cmp_ne_u32_e32 vcc, 0, v7
	v_cmp_ne_u32_e64 s[0:1], 0, v2
	s_and_b64 s[0:1], vcc, s[0:1]
	v_cndmask_b32_e64 v2, 0, 1, s[0:1]
	v_add_u32_e32 v6, v6, v2
; %bb.1880:
	s_or_b64 exec, exec, s[6:7]
	s_mov_b64 s[0:1], 0
	s_mov_b64 s[6:7], -1
	global_store_byte v[0:1], v6, off
.LBB9_1881:
	s_mov_b64 s[10:11], 0
.LBB9_1882:
	s_and_b64 vcc, exec, s[10:11]
	s_cbranch_vccz .LBB9_1885
; %bb.1883:
	v_mov_b32_e32 v2, 29
	v_cmp_eq_u16_sdwa s[10:11], s14, v2 src0_sel:BYTE_0 src1_sel:DWORD
	s_mov_b64 s[0:1], -1
	s_and_b64 vcc, exec, s[10:11]
	s_cbranch_vccz .LBB9_1885
; %bb.1884:
	v_trunc_f64_e32 v[2:3], v[4:5]
	s_movk_i32 s0, 0xffe0
	v_ldexp_f64 v[6:7], v[2:3], s0
	v_floor_f64_e32 v[6:7], v[6:7]
	v_fmac_f64_e32 v[2:3], 0xc1f00000, v[6:7]
	v_cvt_u32_f64_e32 v17, v[6:7]
	v_cvt_u32_f64_e32 v16, v[2:3]
	global_store_dwordx2 v[0:1], v[16:17], off
	s_mov_b64 s[0:1], 0
	s_mov_b64 s[6:7], -1
.LBB9_1885:
	s_mov_b64 s[10:11], 0
.LBB9_1886:
	s_and_b64 vcc, exec, s[10:11]
	s_cbranch_vccz .LBB9_1902
; %bb.1887:
	v_mov_b32_e32 v2, 27
	v_cmp_lt_i16_sdwa s[10:11], s14, v2 src0_sel:BYTE_0 src1_sel:DWORD
	s_mov_b64 s[6:7], -1
	s_and_b64 vcc, exec, s[10:11]
	s_cbranch_vccnz .LBB9_1893
; %bb.1888:
	v_cmp_gt_i16_sdwa s[10:11], s14, v2 src0_sel:BYTE_0 src1_sel:DWORD
	s_and_b64 vcc, exec, s[10:11]
	s_cbranch_vccz .LBB9_1890
; %bb.1889:
	v_cvt_u32_f64_e32 v2, v[4:5]
	s_mov_b64 s[6:7], 0
	global_store_dword v[0:1], v2, off
.LBB9_1890:
	s_andn2_b64 vcc, exec, s[6:7]
	s_cbranch_vccnz .LBB9_1892
; %bb.1891:
	v_cvt_u32_f64_e32 v2, v[4:5]
	global_store_short v[0:1], v2, off
.LBB9_1892:
	s_mov_b64 s[6:7], 0
.LBB9_1893:
	s_andn2_b64 vcc, exec, s[6:7]
	s_cbranch_vccnz .LBB9_1901
; %bb.1894:
	v_cvt_f32_f64_e32 v2, v[4:5]
	v_and_b32_e32 v3, 0x7fffffff, v2
	s_mov_b32 s6, 0x43800000
	v_cmp_gt_u32_e32 vcc, s6, v3
	v_mov_b32_e32 v6, 0x80
	s_and_saveexec_b64 s[6:7], vcc
	s_cbranch_execz .LBB9_1900
; %bb.1895:
	s_mov_b32 s10, 0x3bffffff
	v_cmp_lt_u32_e32 vcc, s10, v3
	s_mov_b64 s[10:11], 0
                                        ; implicit-def: $vgpr3
	s_and_saveexec_b64 s[12:13], vcc
	s_xor_b64 s[12:13], exec, s[12:13]
	s_cbranch_execz .LBB9_1996
; %bb.1896:
	v_bfe_u32 v3, v2, 20, 1
	s_mov_b32 s15, 0x487ffff
	v_add3_u32 v3, v2, v3, s15
	s_mov_b64 s[10:11], exec
	v_lshrrev_b32_e32 v3, 20, v3
	s_or_saveexec_b64 s[12:13], s[12:13]
                                        ; implicit-def: $sgpr15
	s_xor_b64 exec, exec, s[12:13]
	s_cbranch_execnz .LBB9_1997
.LBB9_1897:
	s_or_b64 exec, exec, s[12:13]
	v_mov_b32_e32 v6, s15
	s_and_saveexec_b64 s[12:13], s[10:11]
.LBB9_1898:
	v_lshrrev_b32_e32 v2, 24, v2
	s_movk_i32 s10, 0x80
	v_and_or_b32 v6, v2, s10, v3
.LBB9_1899:
	s_or_b64 exec, exec, s[12:13]
.LBB9_1900:
	s_or_b64 exec, exec, s[6:7]
	global_store_byte v[0:1], v6, off
.LBB9_1901:
	s_mov_b64 s[6:7], -1
.LBB9_1902:
	s_mov_b64 s[10:11], 0
.LBB9_1903:
	s_and_b64 vcc, exec, s[10:11]
	s_cbranch_vccz .LBB9_1943
; %bb.1904:
	v_mov_b32_e32 v2, 22
	v_cmp_gt_i16_sdwa s[10:11], s14, v2 src0_sel:BYTE_0 src1_sel:DWORD
	s_mov_b64 s[4:5], -1
	s_and_b64 vcc, exec, s[10:11]
	s_cbranch_vccz .LBB9_1936
; %bb.1905:
	v_mov_b32_e32 v2, 24
	v_cmp_lt_i16_sdwa s[6:7], s14, v2 src0_sel:BYTE_0 src1_sel:DWORD
	s_and_b64 vcc, exec, s[6:7]
	s_cbranch_vccnz .LBB9_1925
; %bb.1906:
	v_cmp_gt_i16_sdwa s[6:7], s14, v2 src0_sel:BYTE_0 src1_sel:DWORD
	s_and_b64 vcc, exec, s[6:7]
	s_cbranch_vccz .LBB9_1914
; %bb.1907:
	v_cvt_f32_f64_e32 v2, v[4:5]
	v_and_b32_e32 v3, 0x7fffffff, v2
	s_mov_b32 s4, 0x47800000
	v_cmp_gt_u32_e32 vcc, s4, v3
	v_mov_b32_e32 v6, 0x80
	s_and_saveexec_b64 s[4:5], vcc
	s_cbranch_execz .LBB9_1913
; %bb.1908:
	s_mov_b32 s6, 0x37ffffff
	v_cmp_lt_u32_e32 vcc, s6, v3
	s_mov_b64 s[6:7], 0
                                        ; implicit-def: $vgpr3
	s_and_saveexec_b64 s[10:11], vcc
	s_xor_b64 s[10:11], exec, s[10:11]
	s_cbranch_execz .LBB9_2000
; %bb.1909:
	v_bfe_u32 v3, v2, 21, 1
	s_mov_b32 s12, 0x88fffff
	v_add3_u32 v3, v2, v3, s12
	s_mov_b64 s[6:7], exec
	v_lshrrev_b32_e32 v3, 21, v3
	s_or_saveexec_b64 s[10:11], s[10:11]
                                        ; implicit-def: $sgpr12
	s_xor_b64 exec, exec, s[10:11]
	s_cbranch_execnz .LBB9_2001
.LBB9_1910:
	s_or_b64 exec, exec, s[10:11]
	v_mov_b32_e32 v6, s12
	s_and_saveexec_b64 s[10:11], s[6:7]
.LBB9_1911:
	v_lshrrev_b32_e32 v2, 24, v2
	s_movk_i32 s6, 0x80
	v_and_or_b32 v6, v2, s6, v3
.LBB9_1912:
	s_or_b64 exec, exec, s[10:11]
.LBB9_1913:
	s_or_b64 exec, exec, s[4:5]
	s_mov_b64 s[4:5], 0
	global_store_byte v[0:1], v6, off
.LBB9_1914:
	s_and_b64 vcc, exec, s[4:5]
	s_cbranch_vccz .LBB9_1924
; %bb.1915:
	v_cvt_f32_f64_e32 v2, v[4:5]
	v_and_b32_e32 v6, 0x7fffffff, v2
	s_mov_b32 s4, 0x43f00000
	v_cmp_gt_u32_e32 vcc, s4, v6
                                        ; implicit-def: $vgpr3
	s_and_saveexec_b64 s[4:5], vcc
	s_xor_b64 s[4:5], exec, s[4:5]
	s_cbranch_execz .LBB9_1921
; %bb.1916:
	s_mov_b32 s6, 0x3c7fffff
	v_cmp_lt_u32_e32 vcc, s6, v6
                                        ; implicit-def: $vgpr3
	s_and_saveexec_b64 s[6:7], vcc
	s_xor_b64 s[6:7], exec, s[6:7]
; %bb.1917:
	v_bfe_u32 v3, v2, 20, 1
	s_mov_b32 s10, 0x407ffff
	v_add3_u32 v3, v2, v3, s10
	v_lshrrev_b32_e32 v6, 20, v3
	v_and_b32_e32 v3, 0xff00000, v3
	s_mov_b32 s10, 0x7f00000
	v_mov_b32_e32 v7, 0x7e
	v_cmp_ne_u32_e32 vcc, s10, v3
	v_cndmask_b32_e32 v3, v7, v6, vcc
; %bb.1918:
	s_andn2_saveexec_b64 s[6:7], s[6:7]
; %bb.1919:
	s_mov_b32 s10, 0x46800000
	v_add_f32_e64 v3, |v2|, s10
; %bb.1920:
	s_or_b64 exec, exec, s[6:7]
                                        ; implicit-def: $vgpr6
.LBB9_1921:
	s_andn2_saveexec_b64 s[4:5], s[4:5]
; %bb.1922:
	s_mov_b32 s6, 0x7f800000
	v_mov_b32_e32 v3, 0x7e
	v_mov_b32_e32 v7, 0x7f
	v_cmp_lt_u32_e32 vcc, s6, v6
	v_cndmask_b32_e32 v3, v3, v7, vcc
; %bb.1923:
	s_or_b64 exec, exec, s[4:5]
	v_lshrrev_b32_e32 v2, 24, v2
	s_movk_i32 s4, 0x80
	v_and_or_b32 v2, v2, s4, v3
	global_store_byte v[0:1], v2, off
.LBB9_1924:
	s_mov_b64 s[4:5], 0
.LBB9_1925:
	s_andn2_b64 vcc, exec, s[4:5]
	s_cbranch_vccnz .LBB9_1935
; %bb.1926:
	v_cvt_f32_f64_e32 v2, v[4:5]
	v_and_b32_e32 v6, 0x7fffffff, v2
	s_mov_b32 s4, 0x47800000
	v_cmp_gt_u32_e32 vcc, s4, v6
                                        ; implicit-def: $vgpr3
	s_and_saveexec_b64 s[4:5], vcc
	s_xor_b64 s[4:5], exec, s[4:5]
	s_cbranch_execz .LBB9_1932
; %bb.1927:
	s_mov_b32 s6, 0x387fffff
	v_cmp_lt_u32_e32 vcc, s6, v6
                                        ; implicit-def: $vgpr3
	s_and_saveexec_b64 s[6:7], vcc
	s_xor_b64 s[6:7], exec, s[6:7]
; %bb.1928:
	v_bfe_u32 v3, v2, 21, 1
	s_mov_b32 s10, 0x80fffff
	v_add3_u32 v3, v2, v3, s10
	v_lshrrev_b32_e32 v3, 21, v3
; %bb.1929:
	s_andn2_saveexec_b64 s[6:7], s[6:7]
; %bb.1930:
	s_mov_b32 s10, 0x43000000
	v_add_f32_e64 v3, |v2|, s10
; %bb.1931:
	s_or_b64 exec, exec, s[6:7]
                                        ; implicit-def: $vgpr6
.LBB9_1932:
	s_andn2_saveexec_b64 s[4:5], s[4:5]
; %bb.1933:
	s_mov_b32 s6, 0x7f800000
	v_mov_b32_e32 v3, 0x7c
	v_mov_b32_e32 v7, 0x7f
	v_cmp_lt_u32_e32 vcc, s6, v6
	v_cndmask_b32_e32 v3, v3, v7, vcc
; %bb.1934:
	s_or_b64 exec, exec, s[4:5]
	v_lshrrev_b32_e32 v2, 24, v2
	s_movk_i32 s4, 0x80
	v_and_or_b32 v2, v2, s4, v3
	global_store_byte v[0:1], v2, off
.LBB9_1935:
	s_mov_b64 s[4:5], 0
	s_mov_b64 s[6:7], -1
.LBB9_1936:
	s_andn2_b64 vcc, exec, s[4:5]
	s_mov_b64 s[4:5], 0
	s_cbranch_vccnz .LBB9_1943
; %bb.1937:
	v_mov_b32_e32 v2, 14
	v_cmp_gt_i16_sdwa s[4:5], s14, v2 src0_sel:BYTE_0 src1_sel:DWORD
	s_mov_b64 s[10:11], -1
	s_and_b64 vcc, exec, s[4:5]
	s_cbranch_vccz .LBB9_1941
; %bb.1938:
	v_mov_b32_e32 v2, 15
	v_cmp_eq_u16_sdwa s[4:5], s14, v2 src0_sel:BYTE_0 src1_sel:DWORD
	s_mov_b64 s[0:1], -1
	s_and_b64 vcc, exec, s[4:5]
	s_cbranch_vccz .LBB9_1940
; %bb.1939:
	v_cvt_f32_f64_e32 v2, v[4:5]
	v_bfe_u32 v3, v2, 16, 1
	s_movk_i32 s0, 0x7fff
	v_add3_u32 v3, v2, v3, s0
	v_lshrrev_b32_e32 v3, 16, v3
	v_mov_b32_e32 v6, 0x7fc0
	v_cmp_o_f32_e32 vcc, v2, v2
	v_cndmask_b32_e32 v2, v6, v3, vcc
	global_store_short v[0:1], v2, off
	s_mov_b64 s[0:1], 0
	s_mov_b64 s[6:7], -1
.LBB9_1940:
	s_mov_b64 s[10:11], 0
.LBB9_1941:
	s_mov_b64 s[4:5], 0
	s_and_b64 vcc, exec, s[10:11]
	s_cbranch_vccz .LBB9_1943
; %bb.1942:
	v_mov_b32_e32 v2, 11
	v_cmp_ne_u16_sdwa s[0:1], s14, v2 src0_sel:BYTE_0 src1_sel:DWORD
	s_mov_b64 s[4:5], -1
.LBB9_1943:
	s_and_b64 vcc, exec, s[0:1]
	s_cbranch_vccnz .LBB9_1999
; %bb.1944:
	s_andn2_b64 vcc, exec, s[4:5]
	s_cbranch_vccnz .LBB9_1946
.LBB9_1945:
	v_cmp_neq_f64_e32 vcc, 0, v[4:5]
	v_cndmask_b32_e64 v2, 0, 1, vcc
	s_mov_b64 s[6:7], -1
	global_store_byte v[0:1], v2, off
.LBB9_1946:
	s_mov_b64 s[0:1], 0
.LBB9_1947:
	s_and_b64 vcc, exec, s[0:1]
	s_cbranch_vccz .LBB9_1986
; %bb.1948:
	v_mov_b32_e32 v2, 5
	v_cmp_lt_i16_sdwa s[4:5], s14, v2 src0_sel:BYTE_0 src1_sel:DWORD
	s_mov_b64 s[0:1], -1
	s_and_b64 vcc, exec, s[4:5]
	s_cbranch_vccnz .LBB9_1969
; %bb.1949:
	v_mov_b32_e32 v2, 8
	v_cmp_lt_i16_sdwa s[4:5], s14, v2 src0_sel:BYTE_0 src1_sel:DWORD
	s_and_b64 vcc, exec, s[4:5]
	s_cbranch_vccnz .LBB9_1959
; %bb.1950:
	v_mov_b32_e32 v2, 9
	v_cmp_lt_i16_sdwa s[4:5], s14, v2 src0_sel:BYTE_0 src1_sel:DWORD
	s_and_b64 vcc, exec, s[4:5]
	s_cbranch_vccnz .LBB9_1956
; %bb.1951:
	v_cmp_gt_i16_sdwa s[4:5], s14, v2 src0_sel:BYTE_0 src1_sel:DWORD
	s_and_b64 vcc, exec, s[4:5]
	s_cbranch_vccz .LBB9_1953
; %bb.1952:
	v_mov_b32_e32 v6, 0
	v_mov_b32_e32 v7, v6
	global_store_dwordx4 v[0:1], v[4:7], off
	s_mov_b64 s[0:1], 0
.LBB9_1953:
	s_andn2_b64 vcc, exec, s[0:1]
	s_cbranch_vccnz .LBB9_1955
; %bb.1954:
	v_cvt_f32_f64_e32 v2, v[4:5]
	v_mov_b32_e32 v3, 0
	global_store_dwordx2 v[0:1], v[2:3], off
.LBB9_1955:
	s_mov_b64 s[0:1], 0
.LBB9_1956:
	s_andn2_b64 vcc, exec, s[0:1]
	s_cbranch_vccnz .LBB9_1958
; %bb.1957:
	v_cvt_f32_f64_e32 v2, v[4:5]
	v_cvt_f16_f32_e32 v2, v2
	global_store_dword v[0:1], v2, off
.LBB9_1958:
	s_mov_b64 s[0:1], 0
.LBB9_1959:
	s_andn2_b64 vcc, exec, s[0:1]
	s_cbranch_vccnz .LBB9_1968
; %bb.1960:
	v_mov_b32_e32 v2, 6
	v_cmp_lt_i16_sdwa s[4:5], s14, v2 src0_sel:BYTE_0 src1_sel:DWORD
	s_mov_b64 s[0:1], -1
	s_and_b64 vcc, exec, s[4:5]
	s_cbranch_vccnz .LBB9_1966
; %bb.1961:
	v_cmp_gt_i16_sdwa s[4:5], s14, v2 src0_sel:BYTE_0 src1_sel:DWORD
	s_and_b64 vcc, exec, s[4:5]
	s_cbranch_vccz .LBB9_1963
; %bb.1962:
	global_store_dwordx2 v[0:1], v[4:5], off
	s_mov_b64 s[0:1], 0
.LBB9_1963:
	s_andn2_b64 vcc, exec, s[0:1]
	s_cbranch_vccnz .LBB9_1965
; %bb.1964:
	v_cvt_f32_f64_e32 v2, v[4:5]
	global_store_dword v[0:1], v2, off
.LBB9_1965:
	s_mov_b64 s[0:1], 0
.LBB9_1966:
	s_andn2_b64 vcc, exec, s[0:1]
	s_cbranch_vccnz .LBB9_1968
; %bb.1967:
	v_cvt_f32_f64_e32 v2, v[4:5]
	v_cvt_f16_f32_e32 v2, v2
	global_store_short v[0:1], v2, off
.LBB9_1968:
	s_mov_b64 s[0:1], 0
.LBB9_1969:
	s_andn2_b64 vcc, exec, s[0:1]
	s_cbranch_vccnz .LBB9_1985
; %bb.1970:
	v_mov_b32_e32 v2, 2
	v_cmp_lt_i16_sdwa s[4:5], s14, v2 src0_sel:BYTE_0 src1_sel:DWORD
	s_mov_b64 s[0:1], -1
	s_and_b64 vcc, exec, s[4:5]
	s_cbranch_vccnz .LBB9_1980
; %bb.1971:
	v_mov_b32_e32 v2, 3
	v_cmp_lt_i16_sdwa s[4:5], s14, v2 src0_sel:BYTE_0 src1_sel:DWORD
	s_and_b64 vcc, exec, s[4:5]
	s_cbranch_vccnz .LBB9_1977
; %bb.1972:
	v_cmp_gt_i16_sdwa s[4:5], s14, v2 src0_sel:BYTE_0 src1_sel:DWORD
	s_and_b64 vcc, exec, s[4:5]
	s_cbranch_vccz .LBB9_1974
; %bb.1973:
	v_trunc_f64_e32 v[2:3], v[4:5]
	s_movk_i32 s0, 0xffe0
	v_ldexp_f64 v[6:7], v[2:3], s0
	v_floor_f64_e32 v[6:7], v[6:7]
	v_fmac_f64_e32 v[2:3], 0xc1f00000, v[6:7]
	v_cvt_i32_f64_e32 v17, v[6:7]
	v_cvt_u32_f64_e32 v16, v[2:3]
	global_store_dwordx2 v[0:1], v[16:17], off
	s_mov_b64 s[0:1], 0
.LBB9_1974:
	s_andn2_b64 vcc, exec, s[0:1]
	s_cbranch_vccnz .LBB9_1976
; %bb.1975:
	v_cvt_i32_f64_e32 v2, v[4:5]
	global_store_dword v[0:1], v2, off
.LBB9_1976:
	s_mov_b64 s[0:1], 0
.LBB9_1977:
	s_andn2_b64 vcc, exec, s[0:1]
	s_cbranch_vccnz .LBB9_1979
; %bb.1978:
	v_cvt_i32_f64_e32 v2, v[4:5]
	global_store_short v[0:1], v2, off
.LBB9_1979:
	s_mov_b64 s[0:1], 0
.LBB9_1980:
	s_andn2_b64 vcc, exec, s[0:1]
	s_cbranch_vccnz .LBB9_1985
; %bb.1981:
	v_mov_b32_e32 v2, 0
	v_cmp_gt_i16_sdwa s[4:5], s14, v2 src0_sel:BYTE_0 src1_sel:DWORD
	s_mov_b64 s[0:1], -1
	s_and_b64 vcc, exec, s[4:5]
	s_cbranch_vccz .LBB9_1983
; %bb.1982:
	v_cvt_i32_f64_e32 v2, v[4:5]
	global_store_byte v[0:1], v2, off
	s_mov_b64 s[0:1], 0
.LBB9_1983:
	s_andn2_b64 vcc, exec, s[0:1]
	s_cbranch_vccnz .LBB9_1985
; %bb.1984:
	v_trunc_f64_e32 v[2:3], v[4:5]
	s_movk_i32 s0, 0xffe0
	v_ldexp_f64 v[4:5], v[2:3], s0
	v_floor_f64_e32 v[4:5], v[4:5]
	v_fmac_f64_e32 v[2:3], 0xc1f00000, v[4:5]
	v_cvt_u32_f64_e32 v2, v[2:3]
	global_store_byte v[0:1], v2, off
.LBB9_1985:
	s_mov_b64 s[6:7], -1
.LBB9_1986:
	s_andn2_b64 vcc, exec, s[6:7]
	s_cbranch_vccnz .LBB9_2190
; %bb.1987:
	v_mov_b32_e32 v1, s9
	v_add_co_u32_e32 v0, vcc, s8, v10
	v_mov_b32_e32 v2, 11
	v_addc_co_u32_e32 v1, vcc, 0, v1, vcc
	v_cmp_lt_i16_sdwa s[0:1], s14, v2 src0_sel:BYTE_0 src1_sel:DWORD
	s_and_b64 vcc, exec, s[0:1]
	s_cbranch_vccnz .LBB9_1994
; %bb.1988:
	v_mov_b32_e32 v2, 25
	v_cmp_gt_i16_sdwa s[0:1], s14, v2 src0_sel:BYTE_0 src1_sel:DWORD
	s_mov_b64 s[10:11], -1
	s_mov_b64 s[4:5], 0
	s_and_b64 vcc, exec, s[0:1]
	s_mov_b64 s[6:7], 0
	s_mov_b64 s[0:1], 0
	s_cbranch_vccz .LBB9_2030
; %bb.1989:
	v_mov_b32_e32 v2, 28
	v_cmp_gt_i16_sdwa s[0:1], s14, v2 src0_sel:BYTE_0 src1_sel:DWORD
	s_and_b64 vcc, exec, s[0:1]
	s_cbranch_vccz .LBB9_1995
; %bb.1990:
	v_mov_b32_e32 v2, 43
	v_cmp_gt_i16_sdwa s[0:1], s14, v2 src0_sel:BYTE_0 src1_sel:DWORD
	s_and_b64 vcc, exec, s[0:1]
	;; [unrolled: 5-line block ×3, first 2 shown]
	s_cbranch_vccz .LBB9_2002
; %bb.1992:
	v_mov_b32_e32 v2, 46
	v_cmp_eq_u16_sdwa s[6:7], s14, v2 src0_sel:BYTE_0 src1_sel:DWORD
	s_mov_b64 s[0:1], -1
	s_mov_b64 s[10:11], 0
	s_and_b64 vcc, exec, s[6:7]
	s_mov_b64 s[6:7], 0
	s_cbranch_vccz .LBB9_2003
; %bb.1993:
	v_cvt_f32_f64_e32 v2, v[8:9]
	v_bfe_u32 v3, v2, 16, 1
	s_movk_i32 s0, 0x7fff
	v_add3_u32 v3, v2, v3, s0
	v_lshrrev_b32_e32 v3, 16, v3
	v_mov_b32_e32 v4, 0x7fc0
	v_cmp_o_f32_e32 vcc, v2, v2
	v_cndmask_b32_e32 v2, v4, v3, vcc
	global_store_dword v[0:1], v2, off
	s_mov_b64 s[0:1], 0
	s_mov_b64 s[6:7], -1
	s_branch .LBB9_2003
.LBB9_1994:
	s_mov_b64 s[0:1], -1
	s_mov_b64 s[6:7], 0
	s_branch .LBB9_2074
.LBB9_1995:
	s_mov_b64 s[0:1], 0
	s_branch .LBB9_2013
.LBB9_1996:
	s_or_saveexec_b64 s[12:13], s[12:13]
                                        ; implicit-def: $sgpr15
	s_xor_b64 exec, exec, s[12:13]
	s_cbranch_execz .LBB9_1897
.LBB9_1997:
	s_mov_b32 s15, 0x46000000
	v_add_f32_e64 v3, |v2|, s15
	v_and_b32_e32 v3, 0xff, v3
	v_cmp_ne_u32_e32 vcc, 0, v3
	s_andn2_b64 s[10:11], s[10:11], exec
	s_and_b64 s[16:17], vcc, exec
	s_mov_b32 s15, 0
	s_or_b64 s[10:11], s[10:11], s[16:17]
	s_or_b64 exec, exec, s[12:13]
	v_mov_b32_e32 v6, s15
	s_and_saveexec_b64 s[12:13], s[10:11]
	s_cbranch_execnz .LBB9_1898
	s_branch .LBB9_1899
.LBB9_1998:
	s_mov_b64 s[0:1], 0
	s_branch .LBB9_2009
.LBB9_1999:
	s_trap 2
	s_or_b64 s[2:3], s[2:3], exec
	s_cbranch_execz .LBB9_1945
	s_branch .LBB9_1946
.LBB9_2000:
	s_or_saveexec_b64 s[10:11], s[10:11]
                                        ; implicit-def: $sgpr12
	s_xor_b64 exec, exec, s[10:11]
	s_cbranch_execz .LBB9_1910
.LBB9_2001:
	s_mov_b32 s12, 0x42800000
	v_add_f32_e64 v3, |v2|, s12
	v_and_b32_e32 v3, 0xff, v3
	v_cmp_ne_u32_e32 vcc, 0, v3
	s_andn2_b64 s[6:7], s[6:7], exec
	s_and_b64 s[16:17], vcc, exec
	s_mov_b32 s12, 0
	s_or_b64 s[6:7], s[6:7], s[16:17]
	s_or_b64 exec, exec, s[10:11]
	v_mov_b32_e32 v6, s12
	s_and_saveexec_b64 s[10:11], s[6:7]
	s_cbranch_execnz .LBB9_1911
	s_branch .LBB9_1912
.LBB9_2002:
	s_mov_b64 s[0:1], 0
.LBB9_2003:
	s_and_b64 vcc, exec, s[10:11]
	s_cbranch_vccz .LBB9_2008
; %bb.2004:
	v_mov_b32_e32 v2, 44
	v_cmp_eq_u16_sdwa s[10:11], s14, v2 src0_sel:BYTE_0 src1_sel:DWORD
	s_mov_b64 s[0:1], -1
	s_and_b64 vcc, exec, s[10:11]
	s_cbranch_vccz .LBB9_2008
; %bb.2005:
	v_cvt_f32_f64_e32 v2, v[8:9]
	v_bfe_u32 v3, v2, 23, 8
	s_movk_i32 s0, 0xff
	v_cmp_ne_u32_e32 vcc, s0, v3
	v_mov_b32_e32 v4, 0xff
	s_and_saveexec_b64 s[6:7], vcc
; %bb.2006:
	s_mov_b32 s0, 0x3fffff
	v_lshrrev_b32_e32 v4, 23, v2
	v_and_b32_e32 v5, 0x400000, v2
	v_and_or_b32 v2, v2, s0, v3
	v_cmp_ne_u32_e32 vcc, 0, v5
	v_cmp_ne_u32_e64 s[0:1], 0, v2
	s_and_b64 s[0:1], vcc, s[0:1]
	v_cndmask_b32_e64 v2, 0, 1, s[0:1]
	v_add_u32_e32 v4, v4, v2
; %bb.2007:
	s_or_b64 exec, exec, s[6:7]
	s_mov_b64 s[0:1], 0
	s_mov_b64 s[6:7], -1
	global_store_byte v[0:1], v4, off
.LBB9_2008:
	s_mov_b64 s[10:11], 0
.LBB9_2009:
	s_and_b64 vcc, exec, s[10:11]
	s_cbranch_vccz .LBB9_2012
; %bb.2010:
	v_mov_b32_e32 v2, 29
	v_cmp_eq_u16_sdwa s[10:11], s14, v2 src0_sel:BYTE_0 src1_sel:DWORD
	s_mov_b64 s[0:1], -1
	s_and_b64 vcc, exec, s[10:11]
	s_cbranch_vccz .LBB9_2012
; %bb.2011:
	v_trunc_f64_e32 v[2:3], v[8:9]
	s_movk_i32 s0, 0xffe0
	v_ldexp_f64 v[4:5], v[2:3], s0
	v_floor_f64_e32 v[4:5], v[4:5]
	v_fmac_f64_e32 v[2:3], 0xc1f00000, v[4:5]
	v_cvt_u32_f64_e32 v7, v[4:5]
	v_cvt_u32_f64_e32 v6, v[2:3]
	global_store_dwordx2 v[0:1], v[6:7], off
	s_mov_b64 s[0:1], 0
	s_mov_b64 s[6:7], -1
.LBB9_2012:
	s_mov_b64 s[10:11], 0
.LBB9_2013:
	s_and_b64 vcc, exec, s[10:11]
	s_cbranch_vccz .LBB9_2029
; %bb.2014:
	v_mov_b32_e32 v2, 27
	v_cmp_lt_i16_sdwa s[10:11], s14, v2 src0_sel:BYTE_0 src1_sel:DWORD
	s_mov_b64 s[6:7], -1
	s_and_b64 vcc, exec, s[10:11]
	s_cbranch_vccnz .LBB9_2020
; %bb.2015:
	v_cmp_gt_i16_sdwa s[10:11], s14, v2 src0_sel:BYTE_0 src1_sel:DWORD
	s_and_b64 vcc, exec, s[10:11]
	v_cvt_u32_f64_e32 v2, v[8:9]
	s_cbranch_vccz .LBB9_2017
; %bb.2016:
	s_mov_b64 s[6:7], 0
	global_store_dword v[0:1], v2, off
.LBB9_2017:
	s_andn2_b64 vcc, exec, s[6:7]
	s_cbranch_vccnz .LBB9_2019
; %bb.2018:
	global_store_short v[0:1], v2, off
.LBB9_2019:
	s_mov_b64 s[6:7], 0
.LBB9_2020:
	s_andn2_b64 vcc, exec, s[6:7]
	s_cbranch_vccnz .LBB9_2028
; %bb.2021:
	v_cvt_f32_f64_e32 v2, v[8:9]
	v_and_b32_e32 v3, 0x7fffffff, v2
	s_mov_b32 s6, 0x43800000
	v_cmp_gt_u32_e32 vcc, s6, v3
	v_mov_b32_e32 v4, 0x80
	s_and_saveexec_b64 s[6:7], vcc
	s_cbranch_execz .LBB9_2027
; %bb.2022:
	s_mov_b32 s10, 0x3bffffff
	v_cmp_lt_u32_e32 vcc, s10, v3
	s_mov_b64 s[10:11], 0
                                        ; implicit-def: $vgpr3
	s_and_saveexec_b64 s[12:13], vcc
	s_xor_b64 s[12:13], exec, s[12:13]
	s_cbranch_execz .LBB9_2192
; %bb.2023:
	v_bfe_u32 v3, v2, 20, 1
	s_mov_b32 s15, 0x487ffff
	v_add3_u32 v3, v2, v3, s15
	s_mov_b64 s[10:11], exec
	v_lshrrev_b32_e32 v3, 20, v3
	s_or_saveexec_b64 s[12:13], s[12:13]
                                        ; implicit-def: $sgpr15
	s_xor_b64 exec, exec, s[12:13]
	s_cbranch_execnz .LBB9_2193
.LBB9_2024:
	s_or_b64 exec, exec, s[12:13]
	v_mov_b32_e32 v4, s15
	s_and_saveexec_b64 s[12:13], s[10:11]
.LBB9_2025:
	v_lshrrev_b32_e32 v2, 24, v2
	s_movk_i32 s10, 0x80
	v_and_or_b32 v4, v2, s10, v3
.LBB9_2026:
	s_or_b64 exec, exec, s[12:13]
.LBB9_2027:
	s_or_b64 exec, exec, s[6:7]
	global_store_byte v[0:1], v4, off
.LBB9_2028:
	s_mov_b64 s[6:7], -1
.LBB9_2029:
	s_mov_b64 s[10:11], 0
.LBB9_2030:
	s_and_b64 vcc, exec, s[10:11]
	s_cbranch_vccz .LBB9_2070
; %bb.2031:
	v_mov_b32_e32 v2, 22
	v_cmp_gt_i16_sdwa s[10:11], s14, v2 src0_sel:BYTE_0 src1_sel:DWORD
	s_mov_b64 s[4:5], -1
	s_and_b64 vcc, exec, s[10:11]
	s_cbranch_vccz .LBB9_2063
; %bb.2032:
	v_mov_b32_e32 v2, 24
	v_cmp_lt_i16_sdwa s[6:7], s14, v2 src0_sel:BYTE_0 src1_sel:DWORD
	s_and_b64 vcc, exec, s[6:7]
	s_cbranch_vccnz .LBB9_2052
; %bb.2033:
	v_cmp_gt_i16_sdwa s[6:7], s14, v2 src0_sel:BYTE_0 src1_sel:DWORD
	s_and_b64 vcc, exec, s[6:7]
	s_cbranch_vccz .LBB9_2041
; %bb.2034:
	v_cvt_f32_f64_e32 v2, v[8:9]
	v_and_b32_e32 v3, 0x7fffffff, v2
	s_mov_b32 s4, 0x47800000
	v_cmp_gt_u32_e32 vcc, s4, v3
	v_mov_b32_e32 v4, 0x80
	s_and_saveexec_b64 s[4:5], vcc
	s_cbranch_execz .LBB9_2040
; %bb.2035:
	s_mov_b32 s6, 0x37ffffff
	v_cmp_lt_u32_e32 vcc, s6, v3
	s_mov_b64 s[6:7], 0
                                        ; implicit-def: $vgpr3
	s_and_saveexec_b64 s[10:11], vcc
	s_xor_b64 s[10:11], exec, s[10:11]
	s_cbranch_execz .LBB9_2195
; %bb.2036:
	v_bfe_u32 v3, v2, 21, 1
	s_mov_b32 s12, 0x88fffff
	v_add3_u32 v3, v2, v3, s12
	s_mov_b64 s[6:7], exec
	v_lshrrev_b32_e32 v3, 21, v3
	s_or_saveexec_b64 s[10:11], s[10:11]
                                        ; implicit-def: $sgpr12
	s_xor_b64 exec, exec, s[10:11]
	s_cbranch_execnz .LBB9_2196
.LBB9_2037:
	s_or_b64 exec, exec, s[10:11]
	v_mov_b32_e32 v4, s12
	s_and_saveexec_b64 s[10:11], s[6:7]
.LBB9_2038:
	v_lshrrev_b32_e32 v2, 24, v2
	s_movk_i32 s6, 0x80
	v_and_or_b32 v4, v2, s6, v3
.LBB9_2039:
	s_or_b64 exec, exec, s[10:11]
.LBB9_2040:
	s_or_b64 exec, exec, s[4:5]
	s_mov_b64 s[4:5], 0
	global_store_byte v[0:1], v4, off
.LBB9_2041:
	s_and_b64 vcc, exec, s[4:5]
	s_cbranch_vccz .LBB9_2051
; %bb.2042:
	v_cvt_f32_f64_e32 v2, v[8:9]
	v_and_b32_e32 v4, 0x7fffffff, v2
	s_mov_b32 s4, 0x43f00000
	v_cmp_gt_u32_e32 vcc, s4, v4
                                        ; implicit-def: $vgpr3
	s_and_saveexec_b64 s[4:5], vcc
	s_xor_b64 s[4:5], exec, s[4:5]
	s_cbranch_execz .LBB9_2048
; %bb.2043:
	s_mov_b32 s6, 0x3c7fffff
	v_cmp_lt_u32_e32 vcc, s6, v4
                                        ; implicit-def: $vgpr3
	s_and_saveexec_b64 s[6:7], vcc
	s_xor_b64 s[6:7], exec, s[6:7]
; %bb.2044:
	v_bfe_u32 v3, v2, 20, 1
	s_mov_b32 s10, 0x407ffff
	v_add3_u32 v3, v2, v3, s10
	v_lshrrev_b32_e32 v4, 20, v3
	v_and_b32_e32 v3, 0xff00000, v3
	s_mov_b32 s10, 0x7f00000
	v_mov_b32_e32 v5, 0x7e
	v_cmp_ne_u32_e32 vcc, s10, v3
	v_cndmask_b32_e32 v3, v5, v4, vcc
; %bb.2045:
	s_andn2_saveexec_b64 s[6:7], s[6:7]
; %bb.2046:
	s_mov_b32 s10, 0x46800000
	v_add_f32_e64 v3, |v2|, s10
; %bb.2047:
	s_or_b64 exec, exec, s[6:7]
                                        ; implicit-def: $vgpr4
.LBB9_2048:
	s_andn2_saveexec_b64 s[4:5], s[4:5]
; %bb.2049:
	s_mov_b32 s6, 0x7f800000
	v_mov_b32_e32 v3, 0x7e
	v_mov_b32_e32 v5, 0x7f
	v_cmp_lt_u32_e32 vcc, s6, v4
	v_cndmask_b32_e32 v3, v3, v5, vcc
; %bb.2050:
	s_or_b64 exec, exec, s[4:5]
	v_lshrrev_b32_e32 v2, 24, v2
	s_movk_i32 s4, 0x80
	v_and_or_b32 v2, v2, s4, v3
	global_store_byte v[0:1], v2, off
.LBB9_2051:
	s_mov_b64 s[4:5], 0
.LBB9_2052:
	s_andn2_b64 vcc, exec, s[4:5]
	s_cbranch_vccnz .LBB9_2062
; %bb.2053:
	v_cvt_f32_f64_e32 v2, v[8:9]
	v_and_b32_e32 v4, 0x7fffffff, v2
	s_mov_b32 s4, 0x47800000
	v_cmp_gt_u32_e32 vcc, s4, v4
                                        ; implicit-def: $vgpr3
	s_and_saveexec_b64 s[4:5], vcc
	s_xor_b64 s[4:5], exec, s[4:5]
	s_cbranch_execz .LBB9_2059
; %bb.2054:
	s_mov_b32 s6, 0x387fffff
	v_cmp_lt_u32_e32 vcc, s6, v4
                                        ; implicit-def: $vgpr3
	s_and_saveexec_b64 s[6:7], vcc
	s_xor_b64 s[6:7], exec, s[6:7]
; %bb.2055:
	v_bfe_u32 v3, v2, 21, 1
	s_mov_b32 s10, 0x80fffff
	v_add3_u32 v3, v2, v3, s10
	v_lshrrev_b32_e32 v3, 21, v3
; %bb.2056:
	s_andn2_saveexec_b64 s[6:7], s[6:7]
; %bb.2057:
	s_mov_b32 s10, 0x43000000
	v_add_f32_e64 v3, |v2|, s10
; %bb.2058:
	s_or_b64 exec, exec, s[6:7]
                                        ; implicit-def: $vgpr4
.LBB9_2059:
	s_andn2_saveexec_b64 s[4:5], s[4:5]
; %bb.2060:
	s_mov_b32 s6, 0x7f800000
	v_mov_b32_e32 v3, 0x7c
	v_mov_b32_e32 v5, 0x7f
	v_cmp_lt_u32_e32 vcc, s6, v4
	v_cndmask_b32_e32 v3, v3, v5, vcc
; %bb.2061:
	s_or_b64 exec, exec, s[4:5]
	v_lshrrev_b32_e32 v2, 24, v2
	s_movk_i32 s4, 0x80
	v_and_or_b32 v2, v2, s4, v3
	global_store_byte v[0:1], v2, off
.LBB9_2062:
	s_mov_b64 s[4:5], 0
	s_mov_b64 s[6:7], -1
.LBB9_2063:
	s_andn2_b64 vcc, exec, s[4:5]
	s_mov_b64 s[4:5], 0
	s_cbranch_vccnz .LBB9_2070
; %bb.2064:
	v_mov_b32_e32 v2, 14
	v_cmp_gt_i16_sdwa s[4:5], s14, v2 src0_sel:BYTE_0 src1_sel:DWORD
	s_mov_b64 s[10:11], -1
	s_and_b64 vcc, exec, s[4:5]
	s_cbranch_vccz .LBB9_2068
; %bb.2065:
	v_mov_b32_e32 v2, 15
	v_cmp_eq_u16_sdwa s[4:5], s14, v2 src0_sel:BYTE_0 src1_sel:DWORD
	s_mov_b64 s[0:1], -1
	s_and_b64 vcc, exec, s[4:5]
	s_cbranch_vccz .LBB9_2067
; %bb.2066:
	v_cvt_f32_f64_e32 v2, v[8:9]
	v_bfe_u32 v3, v2, 16, 1
	s_movk_i32 s0, 0x7fff
	v_add3_u32 v3, v2, v3, s0
	v_lshrrev_b32_e32 v3, 16, v3
	v_mov_b32_e32 v4, 0x7fc0
	v_cmp_o_f32_e32 vcc, v2, v2
	v_cndmask_b32_e32 v2, v4, v3, vcc
	global_store_short v[0:1], v2, off
	s_mov_b64 s[0:1], 0
	s_mov_b64 s[6:7], -1
.LBB9_2067:
	s_mov_b64 s[10:11], 0
.LBB9_2068:
	s_mov_b64 s[4:5], 0
	s_and_b64 vcc, exec, s[10:11]
	s_cbranch_vccz .LBB9_2070
; %bb.2069:
	v_mov_b32_e32 v2, 11
	v_cmp_ne_u16_sdwa s[0:1], s14, v2 src0_sel:BYTE_0 src1_sel:DWORD
	s_mov_b64 s[4:5], -1
.LBB9_2070:
	s_and_b64 vcc, exec, s[0:1]
	s_cbranch_vccnz .LBB9_2194
; %bb.2071:
	s_andn2_b64 vcc, exec, s[4:5]
	s_cbranch_vccnz .LBB9_2073
.LBB9_2072:
	v_cmp_neq_f64_e32 vcc, 0, v[8:9]
	v_cndmask_b32_e64 v2, 0, 1, vcc
	s_mov_b64 s[6:7], -1
	global_store_byte v[0:1], v2, off
.LBB9_2073:
	s_mov_b64 s[0:1], 0
.LBB9_2074:
	s_and_b64 vcc, exec, s[0:1]
	s_cbranch_vccz .LBB9_2113
; %bb.2075:
	v_mov_b32_e32 v2, 5
	v_cmp_lt_i16_sdwa s[4:5], s14, v2 src0_sel:BYTE_0 src1_sel:DWORD
	s_mov_b64 s[0:1], -1
	s_and_b64 vcc, exec, s[4:5]
	s_cbranch_vccnz .LBB9_2096
; %bb.2076:
	v_mov_b32_e32 v2, 8
	v_cmp_lt_i16_sdwa s[4:5], s14, v2 src0_sel:BYTE_0 src1_sel:DWORD
	s_and_b64 vcc, exec, s[4:5]
	s_cbranch_vccnz .LBB9_2086
; %bb.2077:
	v_mov_b32_e32 v2, 9
	v_cmp_lt_i16_sdwa s[4:5], s14, v2 src0_sel:BYTE_0 src1_sel:DWORD
	s_and_b64 vcc, exec, s[4:5]
	s_cbranch_vccnz .LBB9_2083
; %bb.2078:
	v_cmp_gt_i16_sdwa s[4:5], s14, v2 src0_sel:BYTE_0 src1_sel:DWORD
	s_and_b64 vcc, exec, s[4:5]
	s_cbranch_vccz .LBB9_2080
; %bb.2079:
	v_mov_b32_e32 v10, 0
	v_mov_b32_e32 v11, v10
	global_store_dwordx4 v[0:1], v[8:11], off
	s_mov_b64 s[0:1], 0
.LBB9_2080:
	s_andn2_b64 vcc, exec, s[0:1]
	s_cbranch_vccnz .LBB9_2082
; %bb.2081:
	v_cvt_f32_f64_e32 v2, v[8:9]
	v_mov_b32_e32 v3, 0
	global_store_dwordx2 v[0:1], v[2:3], off
.LBB9_2082:
	s_mov_b64 s[0:1], 0
.LBB9_2083:
	s_andn2_b64 vcc, exec, s[0:1]
	s_cbranch_vccnz .LBB9_2085
; %bb.2084:
	v_cvt_f32_f64_e32 v2, v[8:9]
	v_cvt_f16_f32_e32 v2, v2
	global_store_dword v[0:1], v2, off
.LBB9_2085:
	s_mov_b64 s[0:1], 0
.LBB9_2086:
	s_andn2_b64 vcc, exec, s[0:1]
	s_cbranch_vccnz .LBB9_2095
; %bb.2087:
	v_mov_b32_e32 v2, 6
	v_cmp_lt_i16_sdwa s[4:5], s14, v2 src0_sel:BYTE_0 src1_sel:DWORD
	s_mov_b64 s[0:1], -1
	s_and_b64 vcc, exec, s[4:5]
	s_cbranch_vccnz .LBB9_2093
; %bb.2088:
	v_cmp_gt_i16_sdwa s[4:5], s14, v2 src0_sel:BYTE_0 src1_sel:DWORD
	s_and_b64 vcc, exec, s[4:5]
	s_cbranch_vccz .LBB9_2090
; %bb.2089:
	global_store_dwordx2 v[0:1], v[8:9], off
	s_mov_b64 s[0:1], 0
.LBB9_2090:
	s_andn2_b64 vcc, exec, s[0:1]
	s_cbranch_vccnz .LBB9_2092
; %bb.2091:
	v_cvt_f32_f64_e32 v2, v[8:9]
	global_store_dword v[0:1], v2, off
.LBB9_2092:
	s_mov_b64 s[0:1], 0
.LBB9_2093:
	s_andn2_b64 vcc, exec, s[0:1]
	s_cbranch_vccnz .LBB9_2095
; %bb.2094:
	v_cvt_f32_f64_e32 v2, v[8:9]
	v_cvt_f16_f32_e32 v2, v2
	global_store_short v[0:1], v2, off
.LBB9_2095:
	s_mov_b64 s[0:1], 0
.LBB9_2096:
	s_andn2_b64 vcc, exec, s[0:1]
	s_cbranch_vccnz .LBB9_2112
; %bb.2097:
	v_mov_b32_e32 v2, 2
	v_cmp_lt_i16_sdwa s[4:5], s14, v2 src0_sel:BYTE_0 src1_sel:DWORD
	s_mov_b64 s[0:1], -1
	s_and_b64 vcc, exec, s[4:5]
	s_cbranch_vccnz .LBB9_2107
; %bb.2098:
	v_mov_b32_e32 v2, 3
	v_cmp_lt_i16_sdwa s[4:5], s14, v2 src0_sel:BYTE_0 src1_sel:DWORD
	s_and_b64 vcc, exec, s[4:5]
	s_cbranch_vccnz .LBB9_2104
; %bb.2099:
	v_cmp_gt_i16_sdwa s[4:5], s14, v2 src0_sel:BYTE_0 src1_sel:DWORD
	s_and_b64 vcc, exec, s[4:5]
	s_cbranch_vccz .LBB9_2101
; %bb.2100:
	v_trunc_f64_e32 v[2:3], v[8:9]
	s_movk_i32 s0, 0xffe0
	v_ldexp_f64 v[4:5], v[2:3], s0
	v_floor_f64_e32 v[4:5], v[4:5]
	v_fmac_f64_e32 v[2:3], 0xc1f00000, v[4:5]
	v_cvt_i32_f64_e32 v7, v[4:5]
	v_cvt_u32_f64_e32 v6, v[2:3]
	global_store_dwordx2 v[0:1], v[6:7], off
	s_mov_b64 s[0:1], 0
.LBB9_2101:
	s_andn2_b64 vcc, exec, s[0:1]
	s_cbranch_vccnz .LBB9_2103
; %bb.2102:
	v_cvt_i32_f64_e32 v2, v[8:9]
	global_store_dword v[0:1], v2, off
.LBB9_2103:
	s_mov_b64 s[0:1], 0
.LBB9_2104:
	s_andn2_b64 vcc, exec, s[0:1]
	s_cbranch_vccnz .LBB9_2106
; %bb.2105:
	v_cvt_i32_f64_e32 v2, v[8:9]
	global_store_short v[0:1], v2, off
.LBB9_2106:
	s_mov_b64 s[0:1], 0
.LBB9_2107:
	s_andn2_b64 vcc, exec, s[0:1]
	s_cbranch_vccnz .LBB9_2112
; %bb.2108:
	v_mov_b32_e32 v2, 0
	v_cmp_gt_i16_sdwa s[4:5], s14, v2 src0_sel:BYTE_0 src1_sel:DWORD
	s_mov_b64 s[0:1], -1
	s_and_b64 vcc, exec, s[4:5]
	s_cbranch_vccz .LBB9_2110
; %bb.2109:
	v_cvt_i32_f64_e32 v2, v[8:9]
	global_store_byte v[0:1], v2, off
	s_mov_b64 s[0:1], 0
.LBB9_2110:
	s_andn2_b64 vcc, exec, s[0:1]
	s_cbranch_vccnz .LBB9_2112
; %bb.2111:
	v_trunc_f64_e32 v[2:3], v[8:9]
	s_movk_i32 s0, 0xffe0
	v_ldexp_f64 v[4:5], v[2:3], s0
	v_floor_f64_e32 v[4:5], v[4:5]
	v_fmac_f64_e32 v[2:3], 0xc1f00000, v[4:5]
	v_cvt_u32_f64_e32 v2, v[2:3]
	global_store_byte v[0:1], v2, off
.LBB9_2112:
	s_mov_b64 s[6:7], -1
.LBB9_2113:
	s_andn2_b64 vcc, exec, s[6:7]
	s_cbranch_vccnz .LBB9_2190
; %bb.2114:
	v_mov_b32_e32 v0, 0xff
	v_and_b32_e32 v2, s14, v0
	v_mov_b32_e32 v1, s9
	v_add_co_u32_e32 v0, vcc, s8, v14
	v_addc_co_u32_e32 v1, vcc, 0, v1, vcc
	v_cmp_gt_i16_e32 vcc, 11, v2
	s_cbranch_vccnz .LBB9_2191
; %bb.2115:
	v_cmp_lt_i16_e32 vcc, 25, v2
	s_mov_b64 s[6:7], -1
	s_mov_b64 s[4:5], 0
	s_mov_b64 s[0:1], 0
	s_cbranch_vccz .LBB9_2148
; %bb.2116:
	v_cmp_lt_i16_e32 vcc, 28, v2
	s_cbranch_vccz .LBB9_2132
; %bb.2117:
	v_cmp_lt_i16_e32 vcc, 43, v2
	;; [unrolled: 3-line block ×3, first 2 shown]
	s_cbranch_vccz .LBB9_2122
; %bb.2119:
	v_cmp_eq_u16_e32 vcc, 46, v2
	s_mov_b64 s[0:1], -1
	s_cbranch_vccz .LBB9_2121
; %bb.2120:
	v_cvt_f32_f64_e32 v3, v[12:13]
	v_bfe_u32 v4, v3, 16, 1
	s_movk_i32 s0, 0x7fff
	v_add3_u32 v4, v3, v4, s0
	v_lshrrev_b32_e32 v4, 16, v4
	v_mov_b32_e32 v5, 0x7fc0
	v_cmp_o_f32_e32 vcc, v3, v3
	v_cndmask_b32_e32 v3, v5, v4, vcc
	global_store_dword v[0:1], v3, off
	s_mov_b64 s[0:1], 0
.LBB9_2121:
	s_mov_b64 s[6:7], 0
.LBB9_2122:
	s_and_b64 vcc, exec, s[6:7]
	s_cbranch_vccz .LBB9_2127
; %bb.2123:
	v_cmp_eq_u16_e32 vcc, 44, v2
	s_mov_b64 s[0:1], -1
	s_cbranch_vccz .LBB9_2127
; %bb.2124:
	v_cvt_f32_f64_e32 v3, v[12:13]
	v_bfe_u32 v4, v3, 23, 8
	s_movk_i32 s0, 0xff
	v_cmp_ne_u32_e32 vcc, s0, v4
	v_mov_b32_e32 v5, 0xff
	s_and_saveexec_b64 s[6:7], vcc
; %bb.2125:
	s_mov_b32 s0, 0x3fffff
	v_lshrrev_b32_e32 v5, 23, v3
	v_and_b32_e32 v6, 0x400000, v3
	v_and_or_b32 v3, v3, s0, v4
	v_cmp_ne_u32_e32 vcc, 0, v6
	v_cmp_ne_u32_e64 s[0:1], 0, v3
	s_and_b64 s[0:1], vcc, s[0:1]
	v_cndmask_b32_e64 v3, 0, 1, s[0:1]
	v_add_u32_e32 v5, v5, v3
; %bb.2126:
	s_or_b64 exec, exec, s[6:7]
	s_mov_b64 s[0:1], 0
	global_store_byte v[0:1], v5, off
.LBB9_2127:
	s_mov_b64 s[6:7], 0
.LBB9_2128:
	s_and_b64 vcc, exec, s[6:7]
	s_cbranch_vccz .LBB9_2131
; %bb.2129:
	v_cmp_eq_u16_e32 vcc, 29, v2
	s_mov_b64 s[0:1], -1
	s_cbranch_vccz .LBB9_2131
; %bb.2130:
	v_trunc_f64_e32 v[4:5], v[12:13]
	s_movk_i32 s0, 0xffe0
	v_ldexp_f64 v[6:7], v[4:5], s0
	v_floor_f64_e32 v[6:7], v[6:7]
	v_fmac_f64_e32 v[4:5], 0xc1f00000, v[6:7]
	v_cvt_u32_f64_e32 v9, v[6:7]
	v_cvt_u32_f64_e32 v8, v[4:5]
	global_store_dwordx2 v[0:1], v[8:9], off
	s_mov_b64 s[0:1], 0
.LBB9_2131:
	s_mov_b64 s[6:7], 0
.LBB9_2132:
	s_and_b64 vcc, exec, s[6:7]
	s_cbranch_vccz .LBB9_2147
; %bb.2133:
	v_cmp_gt_i16_e32 vcc, 27, v2
	s_mov_b64 s[6:7], -1
	s_cbranch_vccnz .LBB9_2139
; %bb.2134:
	v_cmp_lt_i16_e32 vcc, 27, v2
	s_cbranch_vccz .LBB9_2136
; %bb.2135:
	v_cvt_u32_f64_e32 v3, v[12:13]
	global_store_dword v[0:1], v3, off
	s_mov_b64 s[6:7], 0
.LBB9_2136:
	s_andn2_b64 vcc, exec, s[6:7]
	s_cbranch_vccnz .LBB9_2138
; %bb.2137:
	v_cvt_u32_f64_e32 v3, v[12:13]
	global_store_short v[0:1], v3, off
.LBB9_2138:
	s_mov_b64 s[6:7], 0
.LBB9_2139:
	s_andn2_b64 vcc, exec, s[6:7]
	s_cbranch_vccnz .LBB9_2147
; %bb.2140:
	v_cvt_f32_f64_e32 v3, v[12:13]
	v_and_b32_e32 v4, 0x7fffffff, v3
	s_mov_b32 s6, 0x43800000
	v_cmp_gt_u32_e32 vcc, s6, v4
	v_mov_b32_e32 v5, 0x80
	s_and_saveexec_b64 s[6:7], vcc
	s_cbranch_execz .LBB9_2146
; %bb.2141:
	s_mov_b32 s8, 0x3bffffff
	v_cmp_lt_u32_e32 vcc, s8, v4
	s_mov_b64 s[8:9], 0
                                        ; implicit-def: $vgpr4
	s_and_saveexec_b64 s[10:11], vcc
	s_xor_b64 s[10:11], exec, s[10:11]
	s_cbranch_execz .LBB9_2197
; %bb.2142:
	v_bfe_u32 v4, v3, 20, 1
	s_mov_b32 s12, 0x487ffff
	v_add3_u32 v4, v3, v4, s12
	s_mov_b64 s[8:9], exec
	v_lshrrev_b32_e32 v4, 20, v4
	s_or_saveexec_b64 s[10:11], s[10:11]
                                        ; implicit-def: $sgpr12
	s_xor_b64 exec, exec, s[10:11]
	s_cbranch_execnz .LBB9_2198
.LBB9_2143:
	s_or_b64 exec, exec, s[10:11]
	v_mov_b32_e32 v5, s12
	s_and_saveexec_b64 s[10:11], s[8:9]
.LBB9_2144:
	v_lshrrev_b32_e32 v3, 24, v3
	s_movk_i32 s8, 0x80
	v_and_or_b32 v5, v3, s8, v4
.LBB9_2145:
	s_or_b64 exec, exec, s[10:11]
.LBB9_2146:
	s_or_b64 exec, exec, s[6:7]
	global_store_byte v[0:1], v5, off
.LBB9_2147:
	s_mov_b64 s[6:7], 0
.LBB9_2148:
	s_and_b64 vcc, exec, s[6:7]
	s_cbranch_vccz .LBB9_2188
; %bb.2149:
	v_cmp_lt_i16_e32 vcc, 22, v2
	s_mov_b64 s[4:5], -1
	s_cbranch_vccz .LBB9_2181
; %bb.2150:
	v_cmp_gt_i16_e32 vcc, 24, v2
	s_cbranch_vccnz .LBB9_2170
; %bb.2151:
	v_cmp_lt_i16_e32 vcc, 24, v2
	s_cbranch_vccz .LBB9_2159
; %bb.2152:
	v_cvt_f32_f64_e32 v3, v[12:13]
	v_and_b32_e32 v4, 0x7fffffff, v3
	s_mov_b32 s4, 0x47800000
	v_cmp_gt_u32_e32 vcc, s4, v4
	v_mov_b32_e32 v5, 0x80
	s_and_saveexec_b64 s[4:5], vcc
	s_cbranch_execz .LBB9_2158
; %bb.2153:
	s_mov_b32 s6, 0x37ffffff
	v_cmp_lt_u32_e32 vcc, s6, v4
	s_mov_b64 s[6:7], 0
                                        ; implicit-def: $vgpr4
	s_and_saveexec_b64 s[8:9], vcc
	s_xor_b64 s[8:9], exec, s[8:9]
	s_cbranch_execz .LBB9_2200
; %bb.2154:
	v_bfe_u32 v4, v3, 21, 1
	s_mov_b32 s10, 0x88fffff
	v_add3_u32 v4, v3, v4, s10
	s_mov_b64 s[6:7], exec
	v_lshrrev_b32_e32 v4, 21, v4
	s_or_saveexec_b64 s[8:9], s[8:9]
                                        ; implicit-def: $sgpr10
	s_xor_b64 exec, exec, s[8:9]
	s_cbranch_execnz .LBB9_2201
.LBB9_2155:
	s_or_b64 exec, exec, s[8:9]
	v_mov_b32_e32 v5, s10
	s_and_saveexec_b64 s[8:9], s[6:7]
.LBB9_2156:
	v_lshrrev_b32_e32 v3, 24, v3
	s_movk_i32 s6, 0x80
	v_and_or_b32 v5, v3, s6, v4
.LBB9_2157:
	s_or_b64 exec, exec, s[8:9]
.LBB9_2158:
	s_or_b64 exec, exec, s[4:5]
	s_mov_b64 s[4:5], 0
	global_store_byte v[0:1], v5, off
.LBB9_2159:
	s_and_b64 vcc, exec, s[4:5]
	s_cbranch_vccz .LBB9_2169
; %bb.2160:
	v_cvt_f32_f64_e32 v3, v[12:13]
	v_and_b32_e32 v5, 0x7fffffff, v3
	s_mov_b32 s4, 0x43f00000
	v_cmp_gt_u32_e32 vcc, s4, v5
                                        ; implicit-def: $vgpr4
	s_and_saveexec_b64 s[4:5], vcc
	s_xor_b64 s[4:5], exec, s[4:5]
	s_cbranch_execz .LBB9_2166
; %bb.2161:
	s_mov_b32 s6, 0x3c7fffff
	v_cmp_lt_u32_e32 vcc, s6, v5
                                        ; implicit-def: $vgpr4
	s_and_saveexec_b64 s[6:7], vcc
	s_xor_b64 s[6:7], exec, s[6:7]
; %bb.2162:
	v_bfe_u32 v4, v3, 20, 1
	s_mov_b32 s8, 0x407ffff
	v_add3_u32 v4, v3, v4, s8
	v_lshrrev_b32_e32 v5, 20, v4
	v_and_b32_e32 v4, 0xff00000, v4
	s_mov_b32 s8, 0x7f00000
	v_mov_b32_e32 v6, 0x7e
	v_cmp_ne_u32_e32 vcc, s8, v4
	v_cndmask_b32_e32 v4, v6, v5, vcc
; %bb.2163:
	s_andn2_saveexec_b64 s[6:7], s[6:7]
; %bb.2164:
	s_mov_b32 s8, 0x46800000
	v_add_f32_e64 v4, |v3|, s8
; %bb.2165:
	s_or_b64 exec, exec, s[6:7]
                                        ; implicit-def: $vgpr5
.LBB9_2166:
	s_andn2_saveexec_b64 s[4:5], s[4:5]
; %bb.2167:
	s_mov_b32 s6, 0x7f800000
	v_mov_b32_e32 v4, 0x7e
	v_mov_b32_e32 v6, 0x7f
	v_cmp_lt_u32_e32 vcc, s6, v5
	v_cndmask_b32_e32 v4, v4, v6, vcc
; %bb.2168:
	s_or_b64 exec, exec, s[4:5]
	v_lshrrev_b32_e32 v3, 24, v3
	s_movk_i32 s4, 0x80
	v_and_or_b32 v3, v3, s4, v4
	global_store_byte v[0:1], v3, off
.LBB9_2169:
	s_mov_b64 s[4:5], 0
.LBB9_2170:
	s_andn2_b64 vcc, exec, s[4:5]
	s_cbranch_vccnz .LBB9_2180
; %bb.2171:
	v_cvt_f32_f64_e32 v3, v[12:13]
	v_and_b32_e32 v5, 0x7fffffff, v3
	s_mov_b32 s4, 0x47800000
	v_cmp_gt_u32_e32 vcc, s4, v5
                                        ; implicit-def: $vgpr4
	s_and_saveexec_b64 s[4:5], vcc
	s_xor_b64 s[4:5], exec, s[4:5]
	s_cbranch_execz .LBB9_2177
; %bb.2172:
	s_mov_b32 s6, 0x387fffff
	v_cmp_lt_u32_e32 vcc, s6, v5
                                        ; implicit-def: $vgpr4
	s_and_saveexec_b64 s[6:7], vcc
	s_xor_b64 s[6:7], exec, s[6:7]
; %bb.2173:
	v_bfe_u32 v4, v3, 21, 1
	s_mov_b32 s8, 0x80fffff
	v_add3_u32 v4, v3, v4, s8
	v_lshrrev_b32_e32 v4, 21, v4
; %bb.2174:
	s_andn2_saveexec_b64 s[6:7], s[6:7]
; %bb.2175:
	s_mov_b32 s8, 0x43000000
	v_add_f32_e64 v4, |v3|, s8
; %bb.2176:
	s_or_b64 exec, exec, s[6:7]
                                        ; implicit-def: $vgpr5
.LBB9_2177:
	s_andn2_saveexec_b64 s[4:5], s[4:5]
; %bb.2178:
	s_mov_b32 s6, 0x7f800000
	v_mov_b32_e32 v4, 0x7c
	v_mov_b32_e32 v6, 0x7f
	v_cmp_lt_u32_e32 vcc, s6, v5
	v_cndmask_b32_e32 v4, v4, v6, vcc
; %bb.2179:
	s_or_b64 exec, exec, s[4:5]
	v_lshrrev_b32_e32 v3, 24, v3
	s_movk_i32 s4, 0x80
	v_and_or_b32 v3, v3, s4, v4
	global_store_byte v[0:1], v3, off
.LBB9_2180:
	s_mov_b64 s[4:5], 0
.LBB9_2181:
	s_andn2_b64 vcc, exec, s[4:5]
	s_mov_b64 s[4:5], 0
	s_cbranch_vccnz .LBB9_2188
; %bb.2182:
	v_cmp_lt_i16_e32 vcc, 14, v2
	s_mov_b64 s[6:7], -1
	s_cbranch_vccz .LBB9_2186
; %bb.2183:
	v_cmp_eq_u16_e32 vcc, 15, v2
	s_mov_b64 s[0:1], -1
	s_cbranch_vccz .LBB9_2185
; %bb.2184:
	v_cvt_f32_f64_e32 v3, v[12:13]
	v_bfe_u32 v4, v3, 16, 1
	s_movk_i32 s0, 0x7fff
	v_add3_u32 v4, v3, v4, s0
	v_lshrrev_b32_e32 v4, 16, v4
	v_mov_b32_e32 v5, 0x7fc0
	v_cmp_o_f32_e32 vcc, v3, v3
	v_cndmask_b32_e32 v3, v5, v4, vcc
	global_store_short v[0:1], v3, off
	s_mov_b64 s[0:1], 0
.LBB9_2185:
	s_mov_b64 s[6:7], 0
.LBB9_2186:
	s_and_b64 vcc, exec, s[6:7]
	s_cbranch_vccz .LBB9_2188
; %bb.2187:
	v_cmp_ne_u16_e64 s[0:1], 11, v2
	s_mov_b64 s[4:5], -1
.LBB9_2188:
	s_and_b64 vcc, exec, s[0:1]
	s_cbranch_vccnz .LBB9_2199
.LBB9_2189:
	s_mov_b64 s[0:1], 0
	s_branch .LBB9_1700
.LBB9_2190:
	s_mov_b64 s[0:1], 0
                                        ; implicit-def: $vgpr0_vgpr1
                                        ; implicit-def: $vgpr2
	s_branch .LBB9_1699
.LBB9_2191:
	s_mov_b64 s[4:5], 0
	s_mov_b64 s[0:1], -1
	s_branch .LBB9_1700
.LBB9_2192:
	s_or_saveexec_b64 s[12:13], s[12:13]
                                        ; implicit-def: $sgpr15
	s_xor_b64 exec, exec, s[12:13]
	s_cbranch_execz .LBB9_2024
.LBB9_2193:
	s_mov_b32 s15, 0x46000000
	v_add_f32_e64 v3, |v2|, s15
	v_and_b32_e32 v3, 0xff, v3
	v_cmp_ne_u32_e32 vcc, 0, v3
	s_andn2_b64 s[10:11], s[10:11], exec
	s_and_b64 s[16:17], vcc, exec
	s_mov_b32 s15, 0
	s_or_b64 s[10:11], s[10:11], s[16:17]
	s_or_b64 exec, exec, s[12:13]
	v_mov_b32_e32 v4, s15
	s_and_saveexec_b64 s[12:13], s[10:11]
	s_cbranch_execnz .LBB9_2025
	s_branch .LBB9_2026
.LBB9_2194:
	s_trap 2
	s_or_b64 s[2:3], s[2:3], exec
	s_cbranch_execz .LBB9_2072
	s_branch .LBB9_2073
.LBB9_2195:
	s_or_saveexec_b64 s[10:11], s[10:11]
                                        ; implicit-def: $sgpr12
	s_xor_b64 exec, exec, s[10:11]
	s_cbranch_execz .LBB9_2037
.LBB9_2196:
	s_mov_b32 s12, 0x42800000
	v_add_f32_e64 v3, |v2|, s12
	v_and_b32_e32 v3, 0xff, v3
	v_cmp_ne_u32_e32 vcc, 0, v3
	s_andn2_b64 s[6:7], s[6:7], exec
	s_and_b64 s[16:17], vcc, exec
	s_mov_b32 s12, 0
	s_or_b64 s[6:7], s[6:7], s[16:17]
	s_or_b64 exec, exec, s[10:11]
	v_mov_b32_e32 v4, s12
	s_and_saveexec_b64 s[10:11], s[6:7]
	s_cbranch_execnz .LBB9_2038
	s_branch .LBB9_2039
.LBB9_2197:
	s_or_saveexec_b64 s[10:11], s[10:11]
                                        ; implicit-def: $sgpr12
	s_xor_b64 exec, exec, s[10:11]
	s_cbranch_execz .LBB9_2143
.LBB9_2198:
	s_mov_b32 s12, 0x46000000
	v_add_f32_e64 v4, |v3|, s12
	v_and_b32_e32 v4, 0xff, v4
	v_cmp_ne_u32_e32 vcc, 0, v4
	s_andn2_b64 s[8:9], s[8:9], exec
	s_and_b64 s[14:15], vcc, exec
	s_mov_b32 s12, 0
	s_or_b64 s[8:9], s[8:9], s[14:15]
	s_or_b64 exec, exec, s[10:11]
	v_mov_b32_e32 v5, s12
	s_and_saveexec_b64 s[10:11], s[8:9]
	s_cbranch_execnz .LBB9_2144
	s_branch .LBB9_2145
.LBB9_2199:
	s_mov_b64 s[4:5], 0
	s_or_b64 s[2:3], s[2:3], exec
	s_trap 2
	s_branch .LBB9_2189
.LBB9_2200:
	s_or_saveexec_b64 s[8:9], s[8:9]
                                        ; implicit-def: $sgpr10
	s_xor_b64 exec, exec, s[8:9]
	s_cbranch_execz .LBB9_2155
.LBB9_2201:
	s_mov_b32 s10, 0x42800000
	v_add_f32_e64 v4, |v3|, s10
	v_and_b32_e32 v4, 0xff, v4
	v_cmp_ne_u32_e32 vcc, 0, v4
	s_andn2_b64 s[6:7], s[6:7], exec
	s_and_b64 s[12:13], vcc, exec
	s_mov_b32 s10, 0
	s_or_b64 s[6:7], s[6:7], s[12:13]
	s_or_b64 exec, exec, s[8:9]
	v_mov_b32_e32 v5, s10
	s_and_saveexec_b64 s[8:9], s[6:7]
	s_cbranch_execnz .LBB9_2156
	s_branch .LBB9_2157
	.section	.rodata,"a",@progbits
	.p2align	6, 0x0
	.amdhsa_kernel _ZN2at6native32elementwise_kernel_manual_unrollILi128ELi4EZNS0_15gpu_kernel_implIZZZNS0_12_GLOBAL__N_130modified_bessel_i0_kernel_cudaERNS_18TensorIteratorBaseEENKUlvE_clEvENKUlvE_clEvEUldE_EEvS5_RKT_EUlibE0_EEviT1_
		.amdhsa_group_segment_fixed_size 0
		.amdhsa_private_segment_fixed_size 0
		.amdhsa_kernarg_size 360
		.amdhsa_user_sgpr_count 6
		.amdhsa_user_sgpr_private_segment_buffer 1
		.amdhsa_user_sgpr_dispatch_ptr 0
		.amdhsa_user_sgpr_queue_ptr 0
		.amdhsa_user_sgpr_kernarg_segment_ptr 1
		.amdhsa_user_sgpr_dispatch_id 0
		.amdhsa_user_sgpr_flat_scratch_init 0
		.amdhsa_user_sgpr_kernarg_preload_length 0
		.amdhsa_user_sgpr_kernarg_preload_offset 0
		.amdhsa_user_sgpr_private_segment_size 0
		.amdhsa_uses_dynamic_stack 0
		.amdhsa_system_sgpr_private_segment_wavefront_offset 0
		.amdhsa_system_sgpr_workgroup_id_x 1
		.amdhsa_system_sgpr_workgroup_id_y 0
		.amdhsa_system_sgpr_workgroup_id_z 0
		.amdhsa_system_sgpr_workgroup_info 0
		.amdhsa_system_vgpr_workitem_id 0
		.amdhsa_next_free_vgpr 28
		.amdhsa_next_free_sgpr 76
		.amdhsa_accum_offset 28
		.amdhsa_reserve_vcc 1
		.amdhsa_reserve_flat_scratch 0
		.amdhsa_float_round_mode_32 0
		.amdhsa_float_round_mode_16_64 0
		.amdhsa_float_denorm_mode_32 3
		.amdhsa_float_denorm_mode_16_64 3
		.amdhsa_dx10_clamp 1
		.amdhsa_ieee_mode 1
		.amdhsa_fp16_overflow 0
		.amdhsa_tg_split 0
		.amdhsa_exception_fp_ieee_invalid_op 0
		.amdhsa_exception_fp_denorm_src 0
		.amdhsa_exception_fp_ieee_div_zero 0
		.amdhsa_exception_fp_ieee_overflow 0
		.amdhsa_exception_fp_ieee_underflow 0
		.amdhsa_exception_fp_ieee_inexact 0
		.amdhsa_exception_int_div_zero 0
	.end_amdhsa_kernel
	.section	.text._ZN2at6native32elementwise_kernel_manual_unrollILi128ELi4EZNS0_15gpu_kernel_implIZZZNS0_12_GLOBAL__N_130modified_bessel_i0_kernel_cudaERNS_18TensorIteratorBaseEENKUlvE_clEvENKUlvE_clEvEUldE_EEvS5_RKT_EUlibE0_EEviT1_,"axG",@progbits,_ZN2at6native32elementwise_kernel_manual_unrollILi128ELi4EZNS0_15gpu_kernel_implIZZZNS0_12_GLOBAL__N_130modified_bessel_i0_kernel_cudaERNS_18TensorIteratorBaseEENKUlvE_clEvENKUlvE_clEvEUldE_EEvS5_RKT_EUlibE0_EEviT1_,comdat
.Lfunc_end9:
	.size	_ZN2at6native32elementwise_kernel_manual_unrollILi128ELi4EZNS0_15gpu_kernel_implIZZZNS0_12_GLOBAL__N_130modified_bessel_i0_kernel_cudaERNS_18TensorIteratorBaseEENKUlvE_clEvENKUlvE_clEvEUldE_EEvS5_RKT_EUlibE0_EEviT1_, .Lfunc_end9-_ZN2at6native32elementwise_kernel_manual_unrollILi128ELi4EZNS0_15gpu_kernel_implIZZZNS0_12_GLOBAL__N_130modified_bessel_i0_kernel_cudaERNS_18TensorIteratorBaseEENKUlvE_clEvENKUlvE_clEvEUldE_EEvS5_RKT_EUlibE0_EEviT1_
                                        ; -- End function
	.section	.AMDGPU.csdata,"",@progbits
; Kernel info:
; codeLenInByte = 63096
; NumSgprs: 80
; NumVgprs: 28
; NumAgprs: 0
; TotalNumVgprs: 28
; ScratchSize: 0
; MemoryBound: 1
; FloatMode: 240
; IeeeMode: 1
; LDSByteSize: 0 bytes/workgroup (compile time only)
; SGPRBlocks: 9
; VGPRBlocks: 3
; NumSGPRsForWavesPerEU: 80
; NumVGPRsForWavesPerEU: 28
; AccumOffset: 28
; Occupancy: 8
; WaveLimiterHint : 1
; COMPUTE_PGM_RSRC2:SCRATCH_EN: 0
; COMPUTE_PGM_RSRC2:USER_SGPR: 6
; COMPUTE_PGM_RSRC2:TRAP_HANDLER: 0
; COMPUTE_PGM_RSRC2:TGID_X_EN: 1
; COMPUTE_PGM_RSRC2:TGID_Y_EN: 0
; COMPUTE_PGM_RSRC2:TGID_Z_EN: 0
; COMPUTE_PGM_RSRC2:TIDIG_COMP_CNT: 0
; COMPUTE_PGM_RSRC3_GFX90A:ACCUM_OFFSET: 6
; COMPUTE_PGM_RSRC3_GFX90A:TG_SPLIT: 0
	.text
	.p2align	2                               ; -- Begin function _ZN2at6native25elementwise_kernel_helperILb0EZZZNS0_12_GLOBAL__N_130modified_bessel_i0_kernel_cudaERNS_18TensorIteratorBaseEENKUlvE_clEvENKUlvE0_clEvEUlfE_NS0_6memory8policies11unroll_baseILi256ESt5arrayIPcLm2EE23TrivialOffsetCalculatorILi1EjESF_NS8_15LoadWithoutCastENS8_16StoreWithoutCastELi4ELi1EEEEEvT0_T1_
	.type	_ZN2at6native25elementwise_kernel_helperILb0EZZZNS0_12_GLOBAL__N_130modified_bessel_i0_kernel_cudaERNS_18TensorIteratorBaseEENKUlvE_clEvENKUlvE0_clEvEUlfE_NS0_6memory8policies11unroll_baseILi256ESt5arrayIPcLm2EE23TrivialOffsetCalculatorILi1EjESF_NS8_15LoadWithoutCastENS8_16StoreWithoutCastELi4ELi1EEEEEvT0_T1_,@function
_ZN2at6native25elementwise_kernel_helperILb0EZZZNS0_12_GLOBAL__N_130modified_bessel_i0_kernel_cudaERNS_18TensorIteratorBaseEENKUlvE_clEvENKUlvE0_clEvEUlfE_NS0_6memory8policies11unroll_baseILi256ESt5arrayIPcLm2EE23TrivialOffsetCalculatorILi1EjESF_NS8_15LoadWithoutCastENS8_16StoreWithoutCastELi4ELi1EEEEEvT0_T1_: ; @_ZN2at6native25elementwise_kernel_helperILb0EZZZNS0_12_GLOBAL__N_130modified_bessel_i0_kernel_cudaERNS_18TensorIteratorBaseEENKUlvE_clEvENKUlvE0_clEvEUlfE_NS0_6memory8policies11unroll_baseILi256ESt5arrayIPcLm2EE23TrivialOffsetCalculatorILi1EjESF_NS8_15LoadWithoutCastENS8_16StoreWithoutCastELi4ELi1EEEEEvT0_T1_
; %bb.0:
	s_waitcnt vmcnt(0) expcnt(0) lgkmcnt(0)
	v_and_b32_e32 v5, 0x3ff, v31
	s_lshl_b32 s12, s12, 10
	v_cmp_lt_i32_e64 s[4:5], v5, v4
	v_mov_b32_e32 v13, 0
	v_or_b32_e32 v10, s12, v5
	v_mov_b32_e32 v14, 0
	v_mov_b32_e32 v6, v5
	s_and_saveexec_b64 s[6:7], s[4:5]
	s_cbranch_execz .LBB10_2
; %bb.1:
	v_mov_b32_e32 v11, 0
	v_lshlrev_b64 v[6:7], 2, v[10:11]
	v_add_co_u32_e32 v6, vcc, v2, v6
	v_addc_co_u32_e32 v7, vcc, v3, v7, vcc
	flat_load_dword v14, v[6:7]
	v_add_u32_e32 v6, 0x100, v5
.LBB10_2:
	s_or_b64 exec, exec, s[6:7]
	v_cmp_lt_i32_e32 vcc, v6, v4
	s_and_saveexec_b64 s[6:7], vcc
	s_cbranch_execz .LBB10_4
; %bb.3:
	v_add_u32_e32 v8, s12, v6
	v_mov_b32_e32 v9, 0
	v_lshlrev_b64 v[8:9], 2, v[8:9]
	v_add_co_u32_e32 v8, vcc, v2, v8
	v_addc_co_u32_e32 v9, vcc, v3, v9, vcc
	flat_load_dword v13, v[8:9]
	v_add_u32_e32 v6, 0x100, v6
.LBB10_4:
	s_or_b64 exec, exec, s[6:7]
	v_cmp_lt_i32_e32 vcc, v6, v4
	v_mov_b32_e32 v11, 0
	v_mov_b32_e32 v12, 0
	s_and_saveexec_b64 s[6:7], vcc
	s_cbranch_execnz .LBB10_7
; %bb.5:
	s_or_b64 exec, exec, s[6:7]
	v_cmp_lt_i32_e32 vcc, v6, v4
	s_and_saveexec_b64 s[6:7], vcc
	s_cbranch_execnz .LBB10_8
.LBB10_6:
	s_or_b64 exec, exec, s[6:7]
                                        ; implicit-def: $vgpr6_vgpr7_vgpr8_vgpr9
	s_and_saveexec_b64 s[8:9], s[4:5]
	s_cbranch_execnz .LBB10_9
	s_branch .LBB10_14
.LBB10_7:
	v_add_u32_e32 v8, s12, v6
	v_mov_b32_e32 v9, 0
	v_lshlrev_b64 v[8:9], 2, v[8:9]
	v_add_co_u32_e32 v8, vcc, v2, v8
	v_addc_co_u32_e32 v9, vcc, v3, v9, vcc
	flat_load_dword v12, v[8:9]
	v_add_u32_e32 v6, 0x100, v6
	s_or_b64 exec, exec, s[6:7]
	v_cmp_lt_i32_e32 vcc, v6, v4
	s_and_saveexec_b64 s[6:7], vcc
	s_cbranch_execz .LBB10_6
.LBB10_8:
	v_add_u32_e32 v6, s12, v6
	v_mov_b32_e32 v7, 0
	v_lshlrev_b64 v[6:7], 2, v[6:7]
	v_add_co_u32_e32 v2, vcc, v2, v6
	v_addc_co_u32_e32 v3, vcc, v3, v7, vcc
	flat_load_dword v11, v[2:3]
	s_or_b64 exec, exec, s[6:7]
                                        ; implicit-def: $vgpr6_vgpr7_vgpr8_vgpr9
	s_and_saveexec_b64 s[8:9], s[4:5]
	s_cbranch_execz .LBB10_14
.LBB10_9:
	s_mov_b32 s6, 0x41000000
	s_waitcnt vmcnt(0) lgkmcnt(0)
	v_cmp_le_f32_e64 s[6:7], |v14|, s6
                                        ; implicit-def: $vgpr6
	s_and_saveexec_b64 s[10:11], s[6:7]
	s_xor_b64 s[6:7], exec, s[10:11]
	s_cbranch_execz .LBB10_11
; %bb.10:
	v_fma_f32 v2, |v14|, 0.5, -2.0
	v_mov_b32_e32 v3, 0x24199b15
	v_fmac_f32_e32 v3, 0xa2a2e5b9, v2
	v_mov_b32_e32 v6, 0x22a2e5b9
	v_fmac_f32_e32 v6, v2, v3
	v_add_f32_e32 v6, 0xa58c275c, v6
	v_fma_f32 v3, v2, v6, -v3
	v_add_f32_e32 v3, 0x26f736c5, v3
	v_fma_f32 v6, v2, v3, -v6
	;; [unrolled: 2-line block ×22, first 2 shown]
	v_add_f32_e32 v6, 0xbcc274f8, v6
	s_mov_b32 s10, 0x3fb8aa3b
	v_fma_f32 v3, v2, v6, -v3
	v_mul_f32_e64 v7, |v14|, s10
	v_add_f32_e32 v3, 0x3d49f456, v3
	v_rndne_f32_e32 v8, v7
	v_fma_f32 v6, v2, v3, -v6
	v_sub_f32_e32 v9, v7, v8
	v_fma_f32 v7, |v14|, s10, -v7
	s_mov_b32 s10, 0x32a5705f
	v_add_f32_e32 v6, 0xbdc25b82, v6
	v_fma_f32 v7, |v14|, s10, v7
	v_fma_f32 v3, v2, v6, -v3
	v_add_f32_e32 v7, v9, v7
	v_add_f32_e32 v3, 0x3e2fbd64, v3
	v_exp_f32_e32 v7, v7
	v_cvt_i32_f32_e32 v8, v8
	v_fma_f32 v6, v2, v3, -v6
	v_add_f32_e32 v6, 0xbe9bff5e, v6
	v_fma_f32 v2, v2, v6, -v3
	s_mov_b32 s10, 0xc2ce8ed0
	v_add_f32_e32 v2, 0x3f2d4275, v2
	v_ldexp_f32 v6, v7, v8
	v_cmp_nlt_f32_e64 vcc, |v14|, s10
	s_mov_b32 s10, 0x42b17218
	v_cndmask_b32_e32 v6, 0, v6, vcc
	v_mov_b32_e32 v7, 0x7f800000
	v_cmp_ngt_f32_e64 vcc, |v14|, s10
	v_sub_f32_e32 v2, v2, v3
	v_cndmask_b32_e32 v6, v7, v6, vcc
	v_mul_f32_e32 v2, 0.5, v2
	v_mul_f32_e32 v6, v6, v2
                                        ; implicit-def: $vgpr14
.LBB10_11:
	s_andn2_saveexec_b64 s[10:11], s[6:7]
	s_cbranch_execz .LBB10_13
; %bb.12:
	v_and_b32_e32 v2, 0x7fffffff, v14
	s_mov_b32 s13, 0x42000000
	v_div_scale_f32 v3, s[6:7], v2, v2, s13
	v_rcp_f32_e32 v6, v3
	v_div_scale_f32 v2, vcc, s13, v2, s13
	s_mov_b32 s6, 0x3fb8aa3b
	v_fma_f32 v7, -v3, v6, 1.0
	v_fmac_f32_e32 v6, v7, v6
	v_mul_f32_e32 v7, v2, v6
	v_fma_f32 v8, -v3, v7, v2
	v_fmac_f32_e32 v7, v8, v6
	v_fma_f32 v2, -v3, v7, v2
	v_div_fmas_f32 v2, v2, v6, v7
	v_div_fixup_f32 v2, v2, |v14|, s13
	v_add_f32_e32 v2, -2.0, v2
	v_mov_b32_e32 v3, 0xa2b236d3
	v_fmac_f32_e32 v3, 0xa3056dbb, v2
	v_mov_b32_e32 v6, 0x23056dbb
	v_fmac_f32_e32 v6, v2, v3
	v_add_f32_e32 v6, 0x244df0c1, v6
	v_fma_f32 v3, v2, v6, -v3
	v_add_f32_e32 v3, 0x241f9ee8, v3
	v_fma_f32 v6, v2, v3, -v6
	;; [unrolled: 2-line block ×17, first 2 shown]
	v_add_f32_e32 v3, 0x32c2b494, v3
	v_mul_f32_e64 v7, |v14|, s6
	v_fma_f32 v6, v2, v3, -v6
	v_rndne_f32_e32 v8, v7
	v_add_f32_e32 v6, 0x345c003f, v6
	v_sub_f32_e32 v9, v7, v8
	v_fma_f32 v7, |v14|, s6, -v7
	s_mov_b32 s6, 0x32a5705f
	v_fma_f32 v3, v2, v6, -v3
	v_fma_f32 v7, |v14|, s6, v7
	v_add_f32_e32 v3, 0x3642095e, v3
	v_add_f32_e32 v7, v9, v7
	v_fma_f32 v6, v2, v3, -v6
	v_exp_f32_e32 v7, v7
	v_cvt_i32_f32_e32 v8, v8
	v_add_f32_e32 v6, 0x38907d1c, v6
	v_fma_f32 v3, v2, v6, -v3
	v_add_f32_e32 v3, 0x3b5ccc65, v3
	s_mov_b32 s6, 0xc2ce8ed0
	v_fma_f32 v2, v2, v3, -v6
	v_ldexp_f32 v3, v7, v8
	v_cmp_nlt_f32_e64 vcc, |v14|, s6
	s_mov_b32 s6, 0x42b17218
	v_cndmask_b32_e32 v3, 0, v3, vcc
	v_mov_b32_e32 v7, 0x7f800000
	v_cmp_ngt_f32_e64 vcc, |v14|, s6
	s_mov_b32 s6, 0xf800000
	s_mov_b32 s7, 0x4f800000
	v_cndmask_b32_e32 v3, v7, v3, vcc
	v_mul_f32_e64 v7, |v14|, s7
	v_cmp_lt_f32_e64 vcc, |v14|, s6
	v_cndmask_b32_e64 v7, |v14|, v7, vcc
	v_sqrt_f32_e32 v8, v7
	v_add_f32_e32 v2, 0x3f4df315, v2
	v_sub_f32_e32 v2, v2, v6
	v_mul_f32_e32 v2, 0.5, v2
	v_mul_f32_e32 v2, v3, v2
	v_add_u32_e32 v3, -1, v8
	v_fma_f32 v6, -v3, v8, v7
	v_cmp_ge_f32_e64 s[6:7], 0, v6
	v_add_u32_e32 v6, 1, v8
	v_cndmask_b32_e64 v3, v8, v3, s[6:7]
	v_fma_f32 v8, -v6, v8, v7
	v_cmp_lt_f32_e64 s[6:7], 0, v8
	v_cndmask_b32_e64 v3, v3, v6, s[6:7]
	v_mul_f32_e32 v6, 0x37800000, v3
	v_cndmask_b32_e32 v3, v3, v6, vcc
	v_mov_b32_e32 v6, 0x260
	v_cmp_class_f32_e32 vcc, v7, v6
	v_cndmask_b32_e32 v3, v3, v7, vcc
	v_div_scale_f32 v6, s[6:7], v3, v3, v2
	v_rcp_f32_e32 v7, v6
	v_fma_f32 v8, -v6, v7, 1.0
	v_fmac_f32_e32 v7, v8, v7
	v_div_scale_f32 v8, vcc, v2, v3, v2
	v_mul_f32_e32 v9, v8, v7
	v_fma_f32 v14, -v6, v9, v8
	v_fmac_f32_e32 v9, v14, v7
	v_fma_f32 v6, -v6, v9, v8
	v_div_fmas_f32 v6, v6, v7, v9
	v_div_fixup_f32 v6, v6, v3, v2
.LBB10_13:
	s_or_b64 exec, exec, s[10:11]
.LBB10_14:
	s_or_b64 exec, exec, s[8:9]
	v_add_u32_e32 v2, 0x100, v5
	v_cmp_lt_i32_e32 vcc, v2, v4
	s_and_saveexec_b64 s[8:9], vcc
	s_cbranch_execz .LBB10_20
; %bb.15:
	s_mov_b32 s6, 0x41000000
	s_waitcnt vmcnt(0) lgkmcnt(0)
	v_cmp_le_f32_e64 s[6:7], |v13|, s6
	s_and_saveexec_b64 s[10:11], s[6:7]
	s_xor_b64 s[6:7], exec, s[10:11]
	s_cbranch_execz .LBB10_17
; %bb.16:
	v_fma_f32 v3, |v13|, 0.5, -2.0
	v_mov_b32_e32 v7, 0x24199b15
	v_fmac_f32_e32 v7, 0xa2a2e5b9, v3
	v_mov_b32_e32 v14, 0x22a2e5b9
	v_fmac_f32_e32 v14, v3, v7
	v_add_f32_e32 v14, 0xa58c275c, v14
	v_fma_f32 v7, v3, v14, -v7
	v_add_f32_e32 v7, 0x26f736c5, v7
	v_fma_f32 v14, v3, v7, -v14
	;; [unrolled: 2-line block ×22, first 2 shown]
	v_add_f32_e32 v14, 0xbcc274f8, v14
	s_mov_b32 s10, 0x3fb8aa3b
	v_fma_f32 v7, v3, v14, -v7
	v_mul_f32_e64 v15, |v13|, s10
	v_add_f32_e32 v7, 0x3d49f456, v7
	v_rndne_f32_e32 v16, v15
	v_fma_f32 v14, v3, v7, -v14
	v_sub_f32_e32 v17, v15, v16
	v_fma_f32 v15, |v13|, s10, -v15
	s_mov_b32 s10, 0x32a5705f
	v_add_f32_e32 v14, 0xbdc25b82, v14
	v_fma_f32 v15, |v13|, s10, v15
	v_fma_f32 v7, v3, v14, -v7
	v_add_f32_e32 v15, v17, v15
	v_add_f32_e32 v7, 0x3e2fbd64, v7
	v_exp_f32_e32 v15, v15
	v_cvt_i32_f32_e32 v16, v16
	v_fma_f32 v14, v3, v7, -v14
	v_add_f32_e32 v14, 0xbe9bff5e, v14
	v_fma_f32 v3, v3, v14, -v7
	s_mov_b32 s10, 0xc2ce8ed0
	v_add_f32_e32 v3, 0x3f2d4275, v3
	v_ldexp_f32 v14, v15, v16
	v_cmp_nlt_f32_e64 vcc, |v13|, s10
	s_mov_b32 s10, 0x42b17218
	v_cndmask_b32_e32 v14, 0, v14, vcc
	v_mov_b32_e32 v15, 0x7f800000
	v_cmp_ngt_f32_e64 vcc, |v13|, s10
	v_sub_f32_e32 v3, v3, v7
	v_cndmask_b32_e32 v13, v15, v14, vcc
	v_mul_f32_e32 v3, 0.5, v3
	v_mul_f32_e32 v7, v13, v3
                                        ; implicit-def: $vgpr13
.LBB10_17:
	s_andn2_saveexec_b64 s[10:11], s[6:7]
	s_cbranch_execz .LBB10_19
; %bb.18:
	v_and_b32_e32 v3, 0x7fffffff, v13
	s_mov_b32 s13, 0x42000000
	v_div_scale_f32 v7, s[6:7], v3, v3, s13
	v_rcp_f32_e32 v14, v7
	v_div_scale_f32 v3, vcc, s13, v3, s13
	s_mov_b32 s6, 0x3fb8aa3b
	v_fma_f32 v15, -v7, v14, 1.0
	v_fmac_f32_e32 v14, v15, v14
	v_mul_f32_e32 v15, v3, v14
	v_fma_f32 v16, -v7, v15, v3
	v_fmac_f32_e32 v15, v16, v14
	v_fma_f32 v3, -v7, v15, v3
	v_div_fmas_f32 v3, v3, v14, v15
	v_div_fixup_f32 v3, v3, |v13|, s13
	v_add_f32_e32 v3, -2.0, v3
	v_mov_b32_e32 v7, 0xa2b236d3
	v_fmac_f32_e32 v7, 0xa3056dbb, v3
	v_mov_b32_e32 v14, 0x23056dbb
	v_fmac_f32_e32 v14, v3, v7
	v_add_f32_e32 v14, 0x244df0c1, v14
	v_fma_f32 v7, v3, v14, -v7
	v_add_f32_e32 v7, 0x241f9ee8, v7
	v_fma_f32 v14, v3, v7, -v14
	;; [unrolled: 2-line block ×17, first 2 shown]
	v_add_f32_e32 v7, 0x32c2b494, v7
	v_mul_f32_e64 v15, |v13|, s6
	v_fma_f32 v14, v3, v7, -v14
	v_rndne_f32_e32 v16, v15
	v_add_f32_e32 v14, 0x345c003f, v14
	v_sub_f32_e32 v17, v15, v16
	v_fma_f32 v15, |v13|, s6, -v15
	s_mov_b32 s6, 0x32a5705f
	v_fma_f32 v7, v3, v14, -v7
	v_fma_f32 v15, |v13|, s6, v15
	v_add_f32_e32 v7, 0x3642095e, v7
	v_add_f32_e32 v15, v17, v15
	v_fma_f32 v14, v3, v7, -v14
	v_exp_f32_e32 v15, v15
	v_cvt_i32_f32_e32 v16, v16
	v_add_f32_e32 v14, 0x38907d1c, v14
	v_fma_f32 v7, v3, v14, -v7
	v_add_f32_e32 v7, 0x3b5ccc65, v7
	s_mov_b32 s6, 0xc2ce8ed0
	v_fma_f32 v3, v3, v7, -v14
	v_ldexp_f32 v7, v15, v16
	v_cmp_nlt_f32_e64 vcc, |v13|, s6
	s_mov_b32 s6, 0x42b17218
	v_cndmask_b32_e32 v7, 0, v7, vcc
	v_mov_b32_e32 v15, 0x7f800000
	v_cmp_ngt_f32_e64 vcc, |v13|, s6
	s_mov_b32 s6, 0xf800000
	s_mov_b32 s7, 0x4f800000
	v_cndmask_b32_e32 v7, v15, v7, vcc
	v_mul_f32_e64 v15, |v13|, s7
	v_cmp_lt_f32_e64 vcc, |v13|, s6
	v_cndmask_b32_e64 v13, |v13|, v15, vcc
	v_sqrt_f32_e32 v15, v13
	v_add_f32_e32 v3, 0x3f4df315, v3
	v_sub_f32_e32 v3, v3, v14
	v_mul_f32_e32 v3, 0.5, v3
	v_mul_f32_e32 v3, v7, v3
	v_add_u32_e32 v7, -1, v15
	v_fma_f32 v14, -v7, v15, v13
	v_cmp_ge_f32_e64 s[6:7], 0, v14
	v_add_u32_e32 v14, 1, v15
	v_cndmask_b32_e64 v7, v15, v7, s[6:7]
	v_fma_f32 v15, -v14, v15, v13
	v_cmp_lt_f32_e64 s[6:7], 0, v15
	v_cndmask_b32_e64 v7, v7, v14, s[6:7]
	v_mul_f32_e32 v14, 0x37800000, v7
	v_cndmask_b32_e32 v7, v7, v14, vcc
	v_mov_b32_e32 v14, 0x260
	v_cmp_class_f32_e32 vcc, v13, v14
	v_cndmask_b32_e32 v7, v7, v13, vcc
	v_div_scale_f32 v13, s[6:7], v7, v7, v3
	v_rcp_f32_e32 v14, v13
	v_fma_f32 v15, -v13, v14, 1.0
	v_fmac_f32_e32 v14, v15, v14
	v_div_scale_f32 v15, vcc, v3, v7, v3
	v_mul_f32_e32 v16, v15, v14
	v_fma_f32 v17, -v13, v16, v15
	v_fmac_f32_e32 v16, v17, v14
	v_fma_f32 v13, -v13, v16, v15
	v_div_fmas_f32 v13, v13, v14, v16
	v_div_fixup_f32 v7, v13, v7, v3
.LBB10_19:
	s_or_b64 exec, exec, s[10:11]
.LBB10_20:
	s_or_b64 exec, exec, s[8:9]
	v_add_u32_e32 v3, 0x200, v5
	v_cmp_lt_i32_e32 vcc, v3, v4
	s_and_saveexec_b64 s[8:9], vcc
	s_cbranch_execz .LBB10_26
; %bb.21:
	s_mov_b32 s6, 0x41000000
	s_waitcnt vmcnt(0) lgkmcnt(0)
	v_cmp_le_f32_e64 s[6:7], |v12|, s6
	s_and_saveexec_b64 s[10:11], s[6:7]
	s_xor_b64 s[6:7], exec, s[10:11]
	s_cbranch_execz .LBB10_23
; %bb.22:
	v_fma_f32 v3, |v12|, 0.5, -2.0
	v_mov_b32_e32 v8, 0x24199b15
	v_fmac_f32_e32 v8, 0xa2a2e5b9, v3
	v_mov_b32_e32 v13, 0x22a2e5b9
	v_fmac_f32_e32 v13, v3, v8
	v_add_f32_e32 v13, 0xa58c275c, v13
	v_fma_f32 v8, v3, v13, -v8
	v_add_f32_e32 v8, 0x26f736c5, v8
	v_fma_f32 v13, v3, v8, -v13
	;; [unrolled: 2-line block ×22, first 2 shown]
	v_add_f32_e32 v13, 0xbcc274f8, v13
	s_mov_b32 s10, 0x3fb8aa3b
	v_fma_f32 v8, v3, v13, -v8
	v_mul_f32_e64 v14, |v12|, s10
	v_add_f32_e32 v8, 0x3d49f456, v8
	v_rndne_f32_e32 v15, v14
	v_fma_f32 v13, v3, v8, -v13
	v_sub_f32_e32 v16, v14, v15
	v_fma_f32 v14, |v12|, s10, -v14
	s_mov_b32 s10, 0x32a5705f
	v_add_f32_e32 v13, 0xbdc25b82, v13
	v_fma_f32 v14, |v12|, s10, v14
	v_fma_f32 v8, v3, v13, -v8
	v_add_f32_e32 v14, v16, v14
	v_add_f32_e32 v8, 0x3e2fbd64, v8
	v_exp_f32_e32 v14, v14
	v_cvt_i32_f32_e32 v15, v15
	v_fma_f32 v13, v3, v8, -v13
	v_add_f32_e32 v13, 0xbe9bff5e, v13
	v_fma_f32 v3, v3, v13, -v8
	s_mov_b32 s10, 0xc2ce8ed0
	v_add_f32_e32 v3, 0x3f2d4275, v3
	v_ldexp_f32 v13, v14, v15
	v_cmp_nlt_f32_e64 vcc, |v12|, s10
	s_mov_b32 s10, 0x42b17218
	v_cndmask_b32_e32 v13, 0, v13, vcc
	v_mov_b32_e32 v14, 0x7f800000
	v_cmp_ngt_f32_e64 vcc, |v12|, s10
	v_sub_f32_e32 v3, v3, v8
	v_cndmask_b32_e32 v12, v14, v13, vcc
	v_mul_f32_e32 v3, 0.5, v3
	v_mul_f32_e32 v8, v12, v3
                                        ; implicit-def: $vgpr12
.LBB10_23:
	s_andn2_saveexec_b64 s[10:11], s[6:7]
	s_cbranch_execz .LBB10_25
; %bb.24:
	v_and_b32_e32 v3, 0x7fffffff, v12
	s_mov_b32 s13, 0x42000000
	v_div_scale_f32 v8, s[6:7], v3, v3, s13
	v_rcp_f32_e32 v13, v8
	v_div_scale_f32 v3, vcc, s13, v3, s13
	s_mov_b32 s6, 0x3fb8aa3b
	v_fma_f32 v14, -v8, v13, 1.0
	v_fmac_f32_e32 v13, v14, v13
	v_mul_f32_e32 v14, v3, v13
	v_fma_f32 v15, -v8, v14, v3
	v_fmac_f32_e32 v14, v15, v13
	v_fma_f32 v3, -v8, v14, v3
	v_div_fmas_f32 v3, v3, v13, v14
	v_div_fixup_f32 v3, v3, |v12|, s13
	v_add_f32_e32 v3, -2.0, v3
	v_mov_b32_e32 v8, 0xa2b236d3
	v_fmac_f32_e32 v8, 0xa3056dbb, v3
	v_mov_b32_e32 v13, 0x23056dbb
	v_fmac_f32_e32 v13, v3, v8
	v_add_f32_e32 v13, 0x244df0c1, v13
	v_fma_f32 v8, v3, v13, -v8
	v_add_f32_e32 v8, 0x241f9ee8, v8
	v_fma_f32 v13, v3, v8, -v13
	;; [unrolled: 2-line block ×17, first 2 shown]
	v_add_f32_e32 v8, 0x32c2b494, v8
	v_mul_f32_e64 v14, |v12|, s6
	v_fma_f32 v13, v3, v8, -v13
	v_rndne_f32_e32 v15, v14
	v_add_f32_e32 v13, 0x345c003f, v13
	v_sub_f32_e32 v16, v14, v15
	v_fma_f32 v14, |v12|, s6, -v14
	s_mov_b32 s6, 0x32a5705f
	v_fma_f32 v8, v3, v13, -v8
	v_fma_f32 v14, |v12|, s6, v14
	v_add_f32_e32 v8, 0x3642095e, v8
	v_add_f32_e32 v14, v16, v14
	v_fma_f32 v13, v3, v8, -v13
	v_exp_f32_e32 v14, v14
	v_cvt_i32_f32_e32 v15, v15
	v_add_f32_e32 v13, 0x38907d1c, v13
	v_fma_f32 v8, v3, v13, -v8
	v_add_f32_e32 v8, 0x3b5ccc65, v8
	s_mov_b32 s6, 0xc2ce8ed0
	v_fma_f32 v3, v3, v8, -v13
	v_ldexp_f32 v8, v14, v15
	v_cmp_nlt_f32_e64 vcc, |v12|, s6
	s_mov_b32 s6, 0x42b17218
	v_cndmask_b32_e32 v8, 0, v8, vcc
	v_mov_b32_e32 v14, 0x7f800000
	v_cmp_ngt_f32_e64 vcc, |v12|, s6
	s_mov_b32 s6, 0xf800000
	s_mov_b32 s7, 0x4f800000
	v_cndmask_b32_e32 v8, v14, v8, vcc
	v_mul_f32_e64 v14, |v12|, s7
	v_cmp_lt_f32_e64 vcc, |v12|, s6
	v_cndmask_b32_e64 v12, |v12|, v14, vcc
	v_sqrt_f32_e32 v14, v12
	v_add_f32_e32 v3, 0x3f4df315, v3
	v_sub_f32_e32 v3, v3, v13
	v_mul_f32_e32 v3, 0.5, v3
	v_mul_f32_e32 v3, v8, v3
	v_add_u32_e32 v8, -1, v14
	v_fma_f32 v13, -v8, v14, v12
	v_cmp_ge_f32_e64 s[6:7], 0, v13
	v_add_u32_e32 v13, 1, v14
	v_cndmask_b32_e64 v8, v14, v8, s[6:7]
	v_fma_f32 v14, -v13, v14, v12
	v_cmp_lt_f32_e64 s[6:7], 0, v14
	v_cndmask_b32_e64 v8, v8, v13, s[6:7]
	v_mul_f32_e32 v13, 0x37800000, v8
	v_cndmask_b32_e32 v8, v8, v13, vcc
	v_mov_b32_e32 v13, 0x260
	v_cmp_class_f32_e32 vcc, v12, v13
	v_cndmask_b32_e32 v8, v8, v12, vcc
	v_div_scale_f32 v12, s[6:7], v8, v8, v3
	v_rcp_f32_e32 v13, v12
	v_fma_f32 v14, -v12, v13, 1.0
	v_fmac_f32_e32 v13, v14, v13
	v_div_scale_f32 v14, vcc, v3, v8, v3
	v_mul_f32_e32 v15, v14, v13
	v_fma_f32 v16, -v12, v15, v14
	v_fmac_f32_e32 v15, v16, v13
	v_fma_f32 v12, -v12, v15, v14
	v_div_fmas_f32 v12, v12, v13, v15
	v_div_fixup_f32 v8, v12, v8, v3
.LBB10_25:
	s_or_b64 exec, exec, s[10:11]
.LBB10_26:
	s_or_b64 exec, exec, s[8:9]
	v_add_u32_e32 v3, 0x300, v5
	v_cmp_lt_i32_e32 vcc, v3, v4
	s_and_saveexec_b64 s[8:9], vcc
	s_cbranch_execnz .LBB10_32
; %bb.27:
	s_or_b64 exec, exec, s[8:9]
	s_and_saveexec_b64 s[6:7], s[4:5]
	s_xor_b64 s[4:5], exec, s[6:7]
	s_cbranch_execnz .LBB10_37
.LBB10_28:
	s_or_b64 exec, exec, s[4:5]
	v_cmp_lt_i32_e32 vcc, v5, v4
	s_and_saveexec_b64 s[4:5], vcc
	s_cbranch_execnz .LBB10_38
.LBB10_29:
	s_or_b64 exec, exec, s[4:5]
	v_cmp_lt_i32_e32 vcc, v5, v4
	s_and_saveexec_b64 s[4:5], vcc
	s_cbranch_execnz .LBB10_39
.LBB10_30:
	s_or_b64 exec, exec, s[4:5]
	v_cmp_lt_i32_e32 vcc, v5, v4
	s_and_saveexec_b64 s[4:5], vcc
	s_cbranch_execnz .LBB10_40
.LBB10_31:
	s_or_b64 exec, exec, s[4:5]
	s_waitcnt vmcnt(0) lgkmcnt(0)
	s_setpc_b64 s[30:31]
.LBB10_32:
	s_mov_b32 s6, 0x41000000
	s_waitcnt vmcnt(0) lgkmcnt(0)
	v_cmp_le_f32_e64 s[6:7], |v11|, s6
	s_and_saveexec_b64 s[10:11], s[6:7]
	s_xor_b64 s[6:7], exec, s[10:11]
	s_cbranch_execz .LBB10_34
; %bb.33:
	v_fma_f32 v3, |v11|, 0.5, -2.0
	v_mov_b32_e32 v9, 0x24199b15
	v_fmac_f32_e32 v9, 0xa2a2e5b9, v3
	v_mov_b32_e32 v12, 0x22a2e5b9
	v_fmac_f32_e32 v12, v3, v9
	v_add_f32_e32 v12, 0xa58c275c, v12
	v_fma_f32 v9, v3, v12, -v9
	v_add_f32_e32 v9, 0x26f736c5, v9
	v_fma_f32 v12, v3, v9, -v12
	;; [unrolled: 2-line block ×22, first 2 shown]
	v_add_f32_e32 v12, 0xbcc274f8, v12
	s_mov_b32 s10, 0x3fb8aa3b
	v_fma_f32 v9, v3, v12, -v9
	v_mul_f32_e64 v13, |v11|, s10
	v_add_f32_e32 v9, 0x3d49f456, v9
	v_rndne_f32_e32 v14, v13
	v_fma_f32 v12, v3, v9, -v12
	v_sub_f32_e32 v15, v13, v14
	v_fma_f32 v13, |v11|, s10, -v13
	s_mov_b32 s10, 0x32a5705f
	v_add_f32_e32 v12, 0xbdc25b82, v12
	v_fma_f32 v13, |v11|, s10, v13
	v_fma_f32 v9, v3, v12, -v9
	v_add_f32_e32 v13, v15, v13
	v_add_f32_e32 v9, 0x3e2fbd64, v9
	v_exp_f32_e32 v13, v13
	v_cvt_i32_f32_e32 v14, v14
	v_fma_f32 v12, v3, v9, -v12
	v_add_f32_e32 v12, 0xbe9bff5e, v12
	v_fma_f32 v3, v3, v12, -v9
	s_mov_b32 s10, 0xc2ce8ed0
	v_add_f32_e32 v3, 0x3f2d4275, v3
	v_ldexp_f32 v12, v13, v14
	v_cmp_nlt_f32_e64 vcc, |v11|, s10
	s_mov_b32 s10, 0x42b17218
	v_cndmask_b32_e32 v12, 0, v12, vcc
	v_mov_b32_e32 v13, 0x7f800000
	v_cmp_ngt_f32_e64 vcc, |v11|, s10
	v_sub_f32_e32 v3, v3, v9
	v_cndmask_b32_e32 v11, v13, v12, vcc
	v_mul_f32_e32 v3, 0.5, v3
	v_mul_f32_e32 v9, v11, v3
                                        ; implicit-def: $vgpr11
.LBB10_34:
	s_andn2_saveexec_b64 s[10:11], s[6:7]
	s_cbranch_execz .LBB10_36
; %bb.35:
	v_and_b32_e32 v3, 0x7fffffff, v11
	s_mov_b32 s13, 0x42000000
	v_div_scale_f32 v9, s[6:7], v3, v3, s13
	v_rcp_f32_e32 v12, v9
	v_div_scale_f32 v3, vcc, s13, v3, s13
	s_mov_b32 s6, 0x3fb8aa3b
	v_fma_f32 v13, -v9, v12, 1.0
	v_fmac_f32_e32 v12, v13, v12
	v_mul_f32_e32 v13, v3, v12
	v_fma_f32 v14, -v9, v13, v3
	v_fmac_f32_e32 v13, v14, v12
	v_fma_f32 v3, -v9, v13, v3
	v_div_fmas_f32 v3, v3, v12, v13
	v_div_fixup_f32 v3, v3, |v11|, s13
	v_add_f32_e32 v3, -2.0, v3
	v_mov_b32_e32 v9, 0xa2b236d3
	v_fmac_f32_e32 v9, 0xa3056dbb, v3
	v_mov_b32_e32 v12, 0x23056dbb
	v_fmac_f32_e32 v12, v3, v9
	v_add_f32_e32 v12, 0x244df0c1, v12
	v_fma_f32 v9, v3, v12, -v9
	v_add_f32_e32 v9, 0x241f9ee8, v9
	v_fma_f32 v12, v3, v9, -v12
	;; [unrolled: 2-line block ×17, first 2 shown]
	v_add_f32_e32 v9, 0x32c2b494, v9
	v_mul_f32_e64 v13, |v11|, s6
	v_fma_f32 v12, v3, v9, -v12
	v_rndne_f32_e32 v14, v13
	v_add_f32_e32 v12, 0x345c003f, v12
	v_sub_f32_e32 v15, v13, v14
	v_fma_f32 v13, |v11|, s6, -v13
	s_mov_b32 s6, 0x32a5705f
	v_fma_f32 v9, v3, v12, -v9
	v_fma_f32 v13, |v11|, s6, v13
	v_add_f32_e32 v9, 0x3642095e, v9
	v_add_f32_e32 v13, v15, v13
	v_fma_f32 v12, v3, v9, -v12
	v_exp_f32_e32 v13, v13
	v_cvt_i32_f32_e32 v14, v14
	v_add_f32_e32 v12, 0x38907d1c, v12
	v_fma_f32 v9, v3, v12, -v9
	v_add_f32_e32 v9, 0x3b5ccc65, v9
	s_mov_b32 s6, 0xc2ce8ed0
	v_fma_f32 v3, v3, v9, -v12
	v_ldexp_f32 v9, v13, v14
	v_cmp_nlt_f32_e64 vcc, |v11|, s6
	s_mov_b32 s6, 0x42b17218
	v_cndmask_b32_e32 v9, 0, v9, vcc
	v_mov_b32_e32 v13, 0x7f800000
	v_cmp_ngt_f32_e64 vcc, |v11|, s6
	s_mov_b32 s6, 0xf800000
	s_mov_b32 s7, 0x4f800000
	v_cndmask_b32_e32 v9, v13, v9, vcc
	v_mul_f32_e64 v13, |v11|, s7
	v_cmp_lt_f32_e64 vcc, |v11|, s6
	v_cndmask_b32_e64 v11, |v11|, v13, vcc
	v_sqrt_f32_e32 v13, v11
	v_add_f32_e32 v3, 0x3f4df315, v3
	v_sub_f32_e32 v3, v3, v12
	v_mul_f32_e32 v3, 0.5, v3
	v_mul_f32_e32 v3, v9, v3
	v_add_u32_e32 v9, -1, v13
	v_fma_f32 v12, -v9, v13, v11
	v_cmp_ge_f32_e64 s[6:7], 0, v12
	v_add_u32_e32 v12, 1, v13
	v_cndmask_b32_e64 v9, v13, v9, s[6:7]
	v_fma_f32 v13, -v12, v13, v11
	v_cmp_lt_f32_e64 s[6:7], 0, v13
	v_cndmask_b32_e64 v9, v9, v12, s[6:7]
	v_mul_f32_e32 v12, 0x37800000, v9
	v_cndmask_b32_e32 v9, v9, v12, vcc
	v_mov_b32_e32 v12, 0x260
	v_cmp_class_f32_e32 vcc, v11, v12
	v_cndmask_b32_e32 v9, v9, v11, vcc
	v_div_scale_f32 v11, s[6:7], v9, v9, v3
	v_rcp_f32_e32 v12, v11
	v_fma_f32 v13, -v11, v12, 1.0
	v_fmac_f32_e32 v12, v13, v12
	v_div_scale_f32 v13, vcc, v3, v9, v3
	v_mul_f32_e32 v14, v13, v12
	v_fma_f32 v15, -v11, v14, v13
	v_fmac_f32_e32 v14, v15, v12
	v_fma_f32 v11, -v11, v14, v13
	v_div_fmas_f32 v11, v11, v12, v14
	v_div_fixup_f32 v9, v11, v9, v3
.LBB10_36:
	s_or_b64 exec, exec, s[10:11]
	s_or_b64 exec, exec, s[8:9]
	s_and_saveexec_b64 s[6:7], s[4:5]
	s_xor_b64 s[4:5], exec, s[6:7]
	s_cbranch_execz .LBB10_28
.LBB10_37:
	s_waitcnt vmcnt(0) lgkmcnt(0)
	v_mov_b32_e32 v11, 0
	v_lshlrev_b64 v[10:11], 2, v[10:11]
	v_add_co_u32_e32 v10, vcc, v0, v10
	v_addc_co_u32_e32 v11, vcc, v1, v11, vcc
	v_mov_b32_e32 v5, v2
	flat_store_dword v[10:11], v6
	s_or_b64 exec, exec, s[4:5]
	v_cmp_lt_i32_e32 vcc, v5, v4
	s_and_saveexec_b64 s[4:5], vcc
	s_cbranch_execz .LBB10_29
.LBB10_38:
	v_add_u32_e32 v2, s12, v5
	v_mov_b32_e32 v3, 0
	v_lshlrev_b64 v[2:3], 2, v[2:3]
	v_add_co_u32_e32 v2, vcc, v0, v2
	v_addc_co_u32_e32 v3, vcc, v1, v3, vcc
	v_add_u32_e32 v5, 0x100, v5
	flat_store_dword v[2:3], v7
	s_or_b64 exec, exec, s[4:5]
	v_cmp_lt_i32_e32 vcc, v5, v4
	s_and_saveexec_b64 s[4:5], vcc
	s_cbranch_execz .LBB10_30
.LBB10_39:
	v_add_u32_e32 v2, s12, v5
	v_mov_b32_e32 v3, 0
	v_lshlrev_b64 v[2:3], 2, v[2:3]
	v_add_co_u32_e32 v2, vcc, v0, v2
	v_addc_co_u32_e32 v3, vcc, v1, v3, vcc
	v_add_u32_e32 v5, 0x100, v5
	flat_store_dword v[2:3], v8
	s_or_b64 exec, exec, s[4:5]
	v_cmp_lt_i32_e32 vcc, v5, v4
	s_and_saveexec_b64 s[4:5], vcc
	s_cbranch_execz .LBB10_31
.LBB10_40:
	v_add_u32_e32 v2, s12, v5
	v_mov_b32_e32 v3, 0
	v_lshlrev_b64 v[2:3], 2, v[2:3]
	v_add_co_u32_e32 v0, vcc, v0, v2
	v_addc_co_u32_e32 v1, vcc, v1, v3, vcc
	flat_store_dword v[0:1], v9
	s_or_b64 exec, exec, s[4:5]
	s_waitcnt vmcnt(0) lgkmcnt(0)
	s_setpc_b64 s[30:31]
.Lfunc_end10:
	.size	_ZN2at6native25elementwise_kernel_helperILb0EZZZNS0_12_GLOBAL__N_130modified_bessel_i0_kernel_cudaERNS_18TensorIteratorBaseEENKUlvE_clEvENKUlvE0_clEvEUlfE_NS0_6memory8policies11unroll_baseILi256ESt5arrayIPcLm2EE23TrivialOffsetCalculatorILi1EjESF_NS8_15LoadWithoutCastENS8_16StoreWithoutCastELi4ELi1EEEEEvT0_T1_, .Lfunc_end10-_ZN2at6native25elementwise_kernel_helperILb0EZZZNS0_12_GLOBAL__N_130modified_bessel_i0_kernel_cudaERNS_18TensorIteratorBaseEENKUlvE_clEvENKUlvE0_clEvEUlfE_NS0_6memory8policies11unroll_baseILi256ESt5arrayIPcLm2EE23TrivialOffsetCalculatorILi1EjESF_NS8_15LoadWithoutCastENS8_16StoreWithoutCastELi4ELi1EEEEEvT0_T1_
                                        ; -- End function
	.section	.AMDGPU.csdata,"",@progbits
; Function info:
; codeLenInByte = 6492
; NumSgprs: 36
; NumVgprs: 32
; NumAgprs: 0
; TotalNumVgprs: 32
; ScratchSize: 0
; MemoryBound: 0
	.section	.text._ZN2at6native29vectorized_elementwise_kernelILi16EZZZNS0_12_GLOBAL__N_130modified_bessel_i0_kernel_cudaERNS_18TensorIteratorBaseEENKUlvE_clEvENKUlvE0_clEvEUlfE_St5arrayIPcLm2EEEEviT0_T1_,"axG",@progbits,_ZN2at6native29vectorized_elementwise_kernelILi16EZZZNS0_12_GLOBAL__N_130modified_bessel_i0_kernel_cudaERNS_18TensorIteratorBaseEENKUlvE_clEvENKUlvE0_clEvEUlfE_St5arrayIPcLm2EEEEviT0_T1_,comdat
	.globl	_ZN2at6native29vectorized_elementwise_kernelILi16EZZZNS0_12_GLOBAL__N_130modified_bessel_i0_kernel_cudaERNS_18TensorIteratorBaseEENKUlvE_clEvENKUlvE0_clEvEUlfE_St5arrayIPcLm2EEEEviT0_T1_ ; -- Begin function _ZN2at6native29vectorized_elementwise_kernelILi16EZZZNS0_12_GLOBAL__N_130modified_bessel_i0_kernel_cudaERNS_18TensorIteratorBaseEENKUlvE_clEvENKUlvE0_clEvEUlfE_St5arrayIPcLm2EEEEviT0_T1_
	.p2align	8
	.type	_ZN2at6native29vectorized_elementwise_kernelILi16EZZZNS0_12_GLOBAL__N_130modified_bessel_i0_kernel_cudaERNS_18TensorIteratorBaseEENKUlvE_clEvENKUlvE0_clEvEUlfE_St5arrayIPcLm2EEEEviT0_T1_,@function
_ZN2at6native29vectorized_elementwise_kernelILi16EZZZNS0_12_GLOBAL__N_130modified_bessel_i0_kernel_cudaERNS_18TensorIteratorBaseEENKUlvE_clEvENKUlvE0_clEvEUlfE_St5arrayIPcLm2EEEEviT0_T1_: ; @_ZN2at6native29vectorized_elementwise_kernelILi16EZZZNS0_12_GLOBAL__N_130modified_bessel_i0_kernel_cudaERNS_18TensorIteratorBaseEENKUlvE_clEvENKUlvE0_clEvEUlfE_St5arrayIPcLm2EEEEviT0_T1_
; %bb.0:
	s_add_u32 flat_scratch_lo, s6, s9
	s_load_dword s6, s[4:5], 0x0
	s_load_dwordx4 s[16:19], s[4:5], 0x8
	s_addc_u32 flat_scratch_hi, s7, 0
	s_add_u32 s0, s0, s9
	s_addc_u32 s1, s1, 0
	s_lshl_b32 s4, s8, 10
	s_waitcnt lgkmcnt(0)
	s_sub_i32 s9, s6, s4
	s_cmpk_gt_i32 s9, 0x3ff
	s_mov_b64 s[6:7], -1
	s_mov_b32 s32, 0
	s_cbranch_scc1 .LBB11_3
; %bb.1:
	s_and_b64 vcc, exec, s[6:7]
	s_cbranch_vccnz .LBB11_20
.LBB11_2:
	s_endpgm
.LBB11_3:
	s_ashr_i32 s5, s4, 31
	s_lshl_b64 s[6:7], s[4:5], 2
	s_add_u32 s4, s18, s6
	s_addc_u32 s5, s19, s7
	v_lshlrev_b32_e32 v1, 4, v0
	global_load_dwordx4 v[2:5], v1, s[4:5]
	s_mov_b32 s4, 0x41000000
                                        ; implicit-def: $vgpr6
	s_waitcnt vmcnt(0)
	v_cmp_le_f32_e64 s[4:5], |v2|, s4
	s_and_saveexec_b64 s[10:11], s[4:5]
	s_xor_b64 s[4:5], exec, s[10:11]
	s_cbranch_execz .LBB11_5
; %bb.4:
	v_fma_f32 v6, |v2|, 0.5, -2.0
	v_mov_b32_e32 v7, 0x24199b15
	v_fmac_f32_e32 v7, 0xa2a2e5b9, v6
	v_mov_b32_e32 v8, 0x22a2e5b9
	v_fmac_f32_e32 v8, v6, v7
	v_add_f32_e32 v8, 0xa58c275c, v8
	v_fma_f32 v7, v6, v8, -v7
	v_add_f32_e32 v7, 0x26f736c5, v7
	v_fma_f32 v8, v6, v7, -v8
	;; [unrolled: 2-line block ×22, first 2 shown]
	v_add_f32_e32 v8, 0xbcc274f8, v8
	s_mov_b32 s10, 0x3fb8aa3b
	v_fma_f32 v7, v6, v8, -v7
	v_mul_f32_e64 v9, |v2|, s10
	v_add_f32_e32 v7, 0x3d49f456, v7
	v_rndne_f32_e32 v10, v9
	v_fma_f32 v8, v6, v7, -v8
	v_sub_f32_e32 v11, v9, v10
	v_fma_f32 v9, |v2|, s10, -v9
	s_mov_b32 s10, 0x32a5705f
	v_add_f32_e32 v8, 0xbdc25b82, v8
	v_fma_f32 v9, |v2|, s10, v9
	v_fma_f32 v7, v6, v8, -v7
	v_add_f32_e32 v9, v11, v9
	v_add_f32_e32 v7, 0x3e2fbd64, v7
	v_exp_f32_e32 v9, v9
	v_cvt_i32_f32_e32 v10, v10
	v_fma_f32 v8, v6, v7, -v8
	v_add_f32_e32 v8, 0xbe9bff5e, v8
	v_fma_f32 v6, v6, v8, -v7
	s_mov_b32 s10, 0xc2ce8ed0
	v_add_f32_e32 v6, 0x3f2d4275, v6
	v_ldexp_f32 v8, v9, v10
	v_cmp_nlt_f32_e64 vcc, |v2|, s10
	s_mov_b32 s10, 0x42b17218
	v_cndmask_b32_e32 v8, 0, v8, vcc
	v_mov_b32_e32 v9, 0x7f800000
	v_cmp_ngt_f32_e64 vcc, |v2|, s10
	v_sub_f32_e32 v6, v6, v7
	v_cndmask_b32_e32 v8, v9, v8, vcc
	v_mul_f32_e32 v6, 0.5, v6
	v_mul_f32_e32 v6, v8, v6
.LBB11_5:
	s_andn2_saveexec_b64 s[10:11], s[4:5]
	s_cbranch_execz .LBB11_7
; %bb.6:
	v_and_b32_e32 v6, 0x7fffffff, v2
	s_mov_b32 s12, 0x42000000
	v_div_scale_f32 v7, s[4:5], v6, v6, s12
	v_rcp_f32_e32 v8, v7
	v_div_scale_f32 v6, vcc, s12, v6, s12
	s_mov_b32 s4, 0x3fb8aa3b
	v_fma_f32 v9, -v7, v8, 1.0
	v_fmac_f32_e32 v8, v9, v8
	v_mul_f32_e32 v9, v6, v8
	v_fma_f32 v10, -v7, v9, v6
	v_fmac_f32_e32 v9, v10, v8
	v_fma_f32 v6, -v7, v9, v6
	v_div_fmas_f32 v6, v6, v8, v9
	v_div_fixup_f32 v6, v6, |v2|, s12
	v_add_f32_e32 v6, -2.0, v6
	v_mov_b32_e32 v7, 0xa2b236d3
	v_fmac_f32_e32 v7, 0xa3056dbb, v6
	v_mov_b32_e32 v8, 0x23056dbb
	v_fmac_f32_e32 v8, v6, v7
	v_add_f32_e32 v8, 0x244df0c1, v8
	v_fma_f32 v7, v6, v8, -v7
	v_add_f32_e32 v7, 0x241f9ee8, v7
	v_fma_f32 v8, v6, v7, -v8
	;; [unrolled: 2-line block ×17, first 2 shown]
	v_add_f32_e32 v7, 0x32c2b494, v7
	v_mul_f32_e64 v9, |v2|, s4
	v_fma_f32 v8, v6, v7, -v8
	v_rndne_f32_e32 v10, v9
	v_add_f32_e32 v8, 0x345c003f, v8
	v_sub_f32_e32 v11, v9, v10
	v_fma_f32 v9, |v2|, s4, -v9
	s_mov_b32 s4, 0x32a5705f
	v_fma_f32 v7, v6, v8, -v7
	v_fma_f32 v9, |v2|, s4, v9
	v_add_f32_e32 v7, 0x3642095e, v7
	v_add_f32_e32 v9, v11, v9
	v_fma_f32 v8, v6, v7, -v8
	v_exp_f32_e32 v9, v9
	v_cvt_i32_f32_e32 v10, v10
	v_add_f32_e32 v8, 0x38907d1c, v8
	v_fma_f32 v7, v6, v8, -v7
	v_add_f32_e32 v7, 0x3b5ccc65, v7
	s_mov_b32 s4, 0xc2ce8ed0
	v_fma_f32 v6, v6, v7, -v8
	v_ldexp_f32 v7, v9, v10
	v_cmp_nlt_f32_e64 vcc, |v2|, s4
	s_mov_b32 s4, 0x42b17218
	v_cndmask_b32_e32 v7, 0, v7, vcc
	v_mov_b32_e32 v9, 0x7f800000
	v_cmp_ngt_f32_e64 vcc, |v2|, s4
	s_mov_b32 s4, 0xf800000
	s_mov_b32 s5, 0x4f800000
	v_cndmask_b32_e32 v7, v9, v7, vcc
	v_mul_f32_e64 v9, |v2|, s5
	v_cmp_lt_f32_e64 vcc, |v2|, s4
	v_cndmask_b32_e64 v2, |v2|, v9, vcc
	v_sqrt_f32_e32 v9, v2
	v_add_f32_e32 v6, 0x3f4df315, v6
	v_sub_f32_e32 v6, v6, v8
	v_mul_f32_e32 v6, 0.5, v6
	v_mul_f32_e32 v6, v7, v6
	v_add_u32_e32 v7, -1, v9
	v_fma_f32 v8, -v7, v9, v2
	v_cmp_ge_f32_e64 s[4:5], 0, v8
	v_add_u32_e32 v8, 1, v9
	v_cndmask_b32_e64 v7, v9, v7, s[4:5]
	v_fma_f32 v9, -v8, v9, v2
	v_cmp_lt_f32_e64 s[4:5], 0, v9
	v_cndmask_b32_e64 v7, v7, v8, s[4:5]
	v_mul_f32_e32 v8, 0x37800000, v7
	v_cndmask_b32_e32 v7, v7, v8, vcc
	v_mov_b32_e32 v8, 0x260
	v_cmp_class_f32_e32 vcc, v2, v8
	v_cndmask_b32_e32 v2, v7, v2, vcc
	v_div_scale_f32 v7, s[4:5], v2, v2, v6
	v_rcp_f32_e32 v8, v7
	v_fma_f32 v9, -v7, v8, 1.0
	v_fmac_f32_e32 v8, v9, v8
	v_div_scale_f32 v9, vcc, v6, v2, v6
	v_mul_f32_e32 v10, v9, v8
	v_fma_f32 v11, -v7, v10, v9
	v_fmac_f32_e32 v10, v11, v8
	v_fma_f32 v7, -v7, v10, v9
	v_div_fmas_f32 v7, v7, v8, v10
	v_div_fixup_f32 v6, v7, v2, v6
.LBB11_7:
	s_or_b64 exec, exec, s[10:11]
	s_mov_b32 s4, 0x41000000
	v_cmp_le_f32_e64 s[4:5], |v3|, s4
	s_and_saveexec_b64 s[10:11], s[4:5]
	s_xor_b64 s[4:5], exec, s[10:11]
	s_cbranch_execz .LBB11_9
; %bb.8:
	v_fma_f32 v2, |v3|, 0.5, -2.0
	v_mov_b32_e32 v7, 0x24199b15
	v_fmac_f32_e32 v7, 0xa2a2e5b9, v2
	v_mov_b32_e32 v8, 0x22a2e5b9
	v_fmac_f32_e32 v8, v2, v7
	v_add_f32_e32 v8, 0xa58c275c, v8
	v_fma_f32 v7, v2, v8, -v7
	v_add_f32_e32 v7, 0x26f736c5, v7
	v_fma_f32 v8, v2, v7, -v8
	;; [unrolled: 2-line block ×22, first 2 shown]
	v_add_f32_e32 v8, 0xbcc274f8, v8
	s_mov_b32 s10, 0x3fb8aa3b
	v_fma_f32 v7, v2, v8, -v7
	v_mul_f32_e64 v9, |v3|, s10
	v_add_f32_e32 v7, 0x3d49f456, v7
	v_rndne_f32_e32 v10, v9
	v_fma_f32 v8, v2, v7, -v8
	v_sub_f32_e32 v11, v9, v10
	v_fma_f32 v9, |v3|, s10, -v9
	s_mov_b32 s10, 0x32a5705f
	v_add_f32_e32 v8, 0xbdc25b82, v8
	v_fma_f32 v9, |v3|, s10, v9
	v_fma_f32 v7, v2, v8, -v7
	v_add_f32_e32 v9, v11, v9
	v_add_f32_e32 v7, 0x3e2fbd64, v7
	v_exp_f32_e32 v9, v9
	v_cvt_i32_f32_e32 v10, v10
	v_fma_f32 v8, v2, v7, -v8
	v_add_f32_e32 v8, 0xbe9bff5e, v8
	v_fma_f32 v2, v2, v8, -v7
	s_mov_b32 s10, 0xc2ce8ed0
	v_add_f32_e32 v2, 0x3f2d4275, v2
	v_ldexp_f32 v8, v9, v10
	v_cmp_nlt_f32_e64 vcc, |v3|, s10
	s_mov_b32 s10, 0x42b17218
	v_cndmask_b32_e32 v8, 0, v8, vcc
	v_mov_b32_e32 v9, 0x7f800000
	v_cmp_ngt_f32_e64 vcc, |v3|, s10
	v_sub_f32_e32 v2, v2, v7
	v_cndmask_b32_e32 v8, v9, v8, vcc
	v_mul_f32_e32 v2, 0.5, v2
	v_mul_f32_e32 v7, v8, v2
.LBB11_9:
	s_andn2_saveexec_b64 s[10:11], s[4:5]
	s_cbranch_execz .LBB11_11
; %bb.10:
	v_and_b32_e32 v2, 0x7fffffff, v3
	s_mov_b32 s12, 0x42000000
	v_div_scale_f32 v7, s[4:5], v2, v2, s12
	v_rcp_f32_e32 v8, v7
	v_div_scale_f32 v2, vcc, s12, v2, s12
	s_mov_b32 s4, 0x3fb8aa3b
	v_fma_f32 v9, -v7, v8, 1.0
	v_fmac_f32_e32 v8, v9, v8
	v_mul_f32_e32 v9, v2, v8
	v_fma_f32 v10, -v7, v9, v2
	v_fmac_f32_e32 v9, v10, v8
	v_fma_f32 v2, -v7, v9, v2
	v_div_fmas_f32 v2, v2, v8, v9
	v_div_fixup_f32 v2, v2, |v3|, s12
	v_add_f32_e32 v2, -2.0, v2
	v_mov_b32_e32 v7, 0xa2b236d3
	v_fmac_f32_e32 v7, 0xa3056dbb, v2
	v_mov_b32_e32 v8, 0x23056dbb
	v_fmac_f32_e32 v8, v2, v7
	v_add_f32_e32 v8, 0x244df0c1, v8
	v_fma_f32 v7, v2, v8, -v7
	v_add_f32_e32 v7, 0x241f9ee8, v7
	v_fma_f32 v8, v2, v7, -v8
	;; [unrolled: 2-line block ×17, first 2 shown]
	v_add_f32_e32 v7, 0x32c2b494, v7
	v_mul_f32_e64 v9, |v3|, s4
	v_fma_f32 v8, v2, v7, -v8
	v_rndne_f32_e32 v10, v9
	v_add_f32_e32 v8, 0x345c003f, v8
	v_sub_f32_e32 v11, v9, v10
	v_fma_f32 v9, |v3|, s4, -v9
	s_mov_b32 s4, 0x32a5705f
	v_fma_f32 v7, v2, v8, -v7
	v_fma_f32 v9, |v3|, s4, v9
	v_add_f32_e32 v7, 0x3642095e, v7
	v_add_f32_e32 v9, v11, v9
	v_fma_f32 v8, v2, v7, -v8
	v_exp_f32_e32 v9, v9
	v_cvt_i32_f32_e32 v10, v10
	v_add_f32_e32 v8, 0x38907d1c, v8
	v_fma_f32 v7, v2, v8, -v7
	v_add_f32_e32 v7, 0x3b5ccc65, v7
	s_mov_b32 s4, 0xc2ce8ed0
	v_fma_f32 v2, v2, v7, -v8
	v_ldexp_f32 v7, v9, v10
	v_cmp_nlt_f32_e64 vcc, |v3|, s4
	s_mov_b32 s4, 0x42b17218
	v_cndmask_b32_e32 v7, 0, v7, vcc
	v_mov_b32_e32 v9, 0x7f800000
	v_cmp_ngt_f32_e64 vcc, |v3|, s4
	s_mov_b32 s4, 0xf800000
	s_mov_b32 s5, 0x4f800000
	v_cndmask_b32_e32 v7, v9, v7, vcc
	v_mul_f32_e64 v9, |v3|, s5
	v_cmp_lt_f32_e64 vcc, |v3|, s4
	v_cndmask_b32_e64 v3, |v3|, v9, vcc
	v_sqrt_f32_e32 v9, v3
	v_add_f32_e32 v2, 0x3f4df315, v2
	v_sub_f32_e32 v2, v2, v8
	v_mul_f32_e32 v2, 0.5, v2
	v_mul_f32_e32 v2, v7, v2
	v_add_u32_e32 v7, -1, v9
	v_fma_f32 v8, -v7, v9, v3
	v_cmp_ge_f32_e64 s[4:5], 0, v8
	v_add_u32_e32 v8, 1, v9
	v_cndmask_b32_e64 v7, v9, v7, s[4:5]
	v_fma_f32 v9, -v8, v9, v3
	v_cmp_lt_f32_e64 s[4:5], 0, v9
	v_cndmask_b32_e64 v7, v7, v8, s[4:5]
	v_mul_f32_e32 v8, 0x37800000, v7
	v_cndmask_b32_e32 v7, v7, v8, vcc
	v_mov_b32_e32 v8, 0x260
	v_cmp_class_f32_e32 vcc, v3, v8
	v_cndmask_b32_e32 v3, v7, v3, vcc
	v_div_scale_f32 v7, s[4:5], v3, v3, v2
	v_rcp_f32_e32 v8, v7
	v_fma_f32 v9, -v7, v8, 1.0
	v_fmac_f32_e32 v8, v9, v8
	v_div_scale_f32 v9, vcc, v2, v3, v2
	v_mul_f32_e32 v10, v9, v8
	v_fma_f32 v11, -v7, v10, v9
	v_fmac_f32_e32 v10, v11, v8
	v_fma_f32 v7, -v7, v10, v9
	v_div_fmas_f32 v7, v7, v8, v10
	v_div_fixup_f32 v7, v7, v3, v2
.LBB11_11:
	s_or_b64 exec, exec, s[10:11]
	s_mov_b32 s4, 0x41000000
	v_cmp_le_f32_e64 s[4:5], |v4|, s4
	s_and_saveexec_b64 s[10:11], s[4:5]
	s_xor_b64 s[4:5], exec, s[10:11]
	s_cbranch_execz .LBB11_13
; %bb.12:
	v_fma_f32 v2, |v4|, 0.5, -2.0
	v_mov_b32_e32 v3, 0x24199b15
	v_fmac_f32_e32 v3, 0xa2a2e5b9, v2
	v_mov_b32_e32 v8, 0x22a2e5b9
	v_fmac_f32_e32 v8, v2, v3
	v_add_f32_e32 v8, 0xa58c275c, v8
	v_fma_f32 v3, v2, v8, -v3
	v_add_f32_e32 v3, 0x26f736c5, v3
	v_fma_f32 v8, v2, v3, -v8
	;; [unrolled: 2-line block ×22, first 2 shown]
	v_add_f32_e32 v8, 0xbcc274f8, v8
	s_mov_b32 s10, 0x3fb8aa3b
	v_fma_f32 v3, v2, v8, -v3
	v_mul_f32_e64 v9, |v4|, s10
	v_add_f32_e32 v3, 0x3d49f456, v3
	v_rndne_f32_e32 v10, v9
	v_fma_f32 v8, v2, v3, -v8
	v_sub_f32_e32 v11, v9, v10
	v_fma_f32 v9, |v4|, s10, -v9
	s_mov_b32 s10, 0x32a5705f
	v_add_f32_e32 v8, 0xbdc25b82, v8
	v_fma_f32 v9, |v4|, s10, v9
	v_fma_f32 v3, v2, v8, -v3
	v_add_f32_e32 v9, v11, v9
	v_add_f32_e32 v3, 0x3e2fbd64, v3
	v_exp_f32_e32 v9, v9
	v_cvt_i32_f32_e32 v10, v10
	v_fma_f32 v8, v2, v3, -v8
	v_add_f32_e32 v8, 0xbe9bff5e, v8
	v_fma_f32 v2, v2, v8, -v3
	s_mov_b32 s10, 0xc2ce8ed0
	v_add_f32_e32 v2, 0x3f2d4275, v2
	v_ldexp_f32 v8, v9, v10
	v_cmp_nlt_f32_e64 vcc, |v4|, s10
	s_mov_b32 s10, 0x42b17218
	v_cndmask_b32_e32 v8, 0, v8, vcc
	v_mov_b32_e32 v9, 0x7f800000
	v_cmp_ngt_f32_e64 vcc, |v4|, s10
	v_sub_f32_e32 v2, v2, v3
	v_cndmask_b32_e32 v8, v9, v8, vcc
	v_mul_f32_e32 v2, 0.5, v2
	v_mul_f32_e32 v8, v8, v2
.LBB11_13:
	s_andn2_saveexec_b64 s[10:11], s[4:5]
	s_cbranch_execz .LBB11_15
; %bb.14:
	v_and_b32_e32 v2, 0x7fffffff, v4
	s_mov_b32 s12, 0x42000000
	v_div_scale_f32 v3, s[4:5], v2, v2, s12
	v_rcp_f32_e32 v8, v3
	v_div_scale_f32 v2, vcc, s12, v2, s12
	s_mov_b32 s4, 0x3fb8aa3b
	v_fma_f32 v9, -v3, v8, 1.0
	v_fmac_f32_e32 v8, v9, v8
	v_mul_f32_e32 v9, v2, v8
	v_fma_f32 v10, -v3, v9, v2
	v_fmac_f32_e32 v9, v10, v8
	v_fma_f32 v2, -v3, v9, v2
	v_div_fmas_f32 v2, v2, v8, v9
	v_div_fixup_f32 v2, v2, |v4|, s12
	v_add_f32_e32 v2, -2.0, v2
	v_mov_b32_e32 v3, 0xa2b236d3
	v_fmac_f32_e32 v3, 0xa3056dbb, v2
	v_mov_b32_e32 v8, 0x23056dbb
	v_fmac_f32_e32 v8, v2, v3
	v_add_f32_e32 v8, 0x244df0c1, v8
	v_fma_f32 v3, v2, v8, -v3
	v_add_f32_e32 v3, 0x241f9ee8, v3
	v_fma_f32 v8, v2, v3, -v8
	;; [unrolled: 2-line block ×17, first 2 shown]
	v_add_f32_e32 v3, 0x32c2b494, v3
	v_mul_f32_e64 v9, |v4|, s4
	v_fma_f32 v8, v2, v3, -v8
	v_rndne_f32_e32 v10, v9
	v_add_f32_e32 v8, 0x345c003f, v8
	v_sub_f32_e32 v11, v9, v10
	v_fma_f32 v9, |v4|, s4, -v9
	s_mov_b32 s4, 0x32a5705f
	v_fma_f32 v3, v2, v8, -v3
	v_fma_f32 v9, |v4|, s4, v9
	v_add_f32_e32 v3, 0x3642095e, v3
	v_add_f32_e32 v9, v11, v9
	v_fma_f32 v8, v2, v3, -v8
	v_exp_f32_e32 v9, v9
	v_cvt_i32_f32_e32 v10, v10
	v_add_f32_e32 v8, 0x38907d1c, v8
	v_fma_f32 v3, v2, v8, -v3
	v_add_f32_e32 v3, 0x3b5ccc65, v3
	s_mov_b32 s4, 0xc2ce8ed0
	v_fma_f32 v2, v2, v3, -v8
	v_ldexp_f32 v3, v9, v10
	v_cmp_nlt_f32_e64 vcc, |v4|, s4
	s_mov_b32 s4, 0x42b17218
	v_cndmask_b32_e32 v3, 0, v3, vcc
	v_mov_b32_e32 v9, 0x7f800000
	v_cmp_ngt_f32_e64 vcc, |v4|, s4
	s_mov_b32 s4, 0xf800000
	s_mov_b32 s5, 0x4f800000
	v_cndmask_b32_e32 v3, v9, v3, vcc
	v_mul_f32_e64 v9, |v4|, s5
	v_cmp_lt_f32_e64 vcc, |v4|, s4
	v_cndmask_b32_e64 v4, |v4|, v9, vcc
	v_sqrt_f32_e32 v9, v4
	v_add_f32_e32 v2, 0x3f4df315, v2
	v_sub_f32_e32 v2, v2, v8
	v_mul_f32_e32 v2, 0.5, v2
	v_mul_f32_e32 v2, v3, v2
	v_add_u32_e32 v3, -1, v9
	v_fma_f32 v8, -v3, v9, v4
	v_cmp_ge_f32_e64 s[4:5], 0, v8
	v_add_u32_e32 v8, 1, v9
	v_cndmask_b32_e64 v3, v9, v3, s[4:5]
	v_fma_f32 v9, -v8, v9, v4
	v_cmp_lt_f32_e64 s[4:5], 0, v9
	v_cndmask_b32_e64 v3, v3, v8, s[4:5]
	v_mul_f32_e32 v8, 0x37800000, v3
	v_cndmask_b32_e32 v3, v3, v8, vcc
	v_mov_b32_e32 v8, 0x260
	v_cmp_class_f32_e32 vcc, v4, v8
	v_cndmask_b32_e32 v3, v3, v4, vcc
	v_div_scale_f32 v4, s[4:5], v3, v3, v2
	v_rcp_f32_e32 v8, v4
	v_fma_f32 v9, -v4, v8, 1.0
	v_fmac_f32_e32 v8, v9, v8
	v_div_scale_f32 v9, vcc, v2, v3, v2
	v_mul_f32_e32 v10, v9, v8
	v_fma_f32 v11, -v4, v10, v9
	v_fmac_f32_e32 v10, v11, v8
	v_fma_f32 v4, -v4, v10, v9
	v_div_fmas_f32 v4, v4, v8, v10
	v_div_fixup_f32 v8, v4, v3, v2
.LBB11_15:
	s_or_b64 exec, exec, s[10:11]
	s_mov_b32 s4, 0x41000000
	v_cmp_le_f32_e64 s[4:5], |v5|, s4
	s_and_saveexec_b64 s[10:11], s[4:5]
	s_xor_b64 s[4:5], exec, s[10:11]
	s_cbranch_execz .LBB11_17
; %bb.16:
	v_fma_f32 v2, |v5|, 0.5, -2.0
	v_mov_b32_e32 v3, 0x24199b15
	v_fmac_f32_e32 v3, 0xa2a2e5b9, v2
	v_mov_b32_e32 v4, 0x22a2e5b9
	v_fmac_f32_e32 v4, v2, v3
	v_add_f32_e32 v4, 0xa58c275c, v4
	v_fma_f32 v3, v2, v4, -v3
	v_add_f32_e32 v3, 0x26f736c5, v3
	v_fma_f32 v4, v2, v3, -v4
	;; [unrolled: 2-line block ×22, first 2 shown]
	v_add_f32_e32 v4, 0xbcc274f8, v4
	s_mov_b32 s10, 0x3fb8aa3b
	v_fma_f32 v3, v2, v4, -v3
	v_mul_f32_e64 v9, |v5|, s10
	v_add_f32_e32 v3, 0x3d49f456, v3
	v_rndne_f32_e32 v10, v9
	v_fma_f32 v4, v2, v3, -v4
	v_sub_f32_e32 v11, v9, v10
	v_fma_f32 v9, |v5|, s10, -v9
	s_mov_b32 s10, 0x32a5705f
	v_add_f32_e32 v4, 0xbdc25b82, v4
	v_fma_f32 v9, |v5|, s10, v9
	v_fma_f32 v3, v2, v4, -v3
	v_add_f32_e32 v9, v11, v9
	v_add_f32_e32 v3, 0x3e2fbd64, v3
	v_exp_f32_e32 v9, v9
	v_cvt_i32_f32_e32 v10, v10
	v_fma_f32 v4, v2, v3, -v4
	v_add_f32_e32 v4, 0xbe9bff5e, v4
	v_fma_f32 v2, v2, v4, -v3
	s_mov_b32 s10, 0xc2ce8ed0
	v_add_f32_e32 v2, 0x3f2d4275, v2
	v_ldexp_f32 v4, v9, v10
	v_cmp_nlt_f32_e64 vcc, |v5|, s10
	s_mov_b32 s10, 0x42b17218
	v_cndmask_b32_e32 v4, 0, v4, vcc
	v_mov_b32_e32 v9, 0x7f800000
	v_cmp_ngt_f32_e64 vcc, |v5|, s10
	v_sub_f32_e32 v2, v2, v3
	v_cndmask_b32_e32 v4, v9, v4, vcc
	v_mul_f32_e32 v2, 0.5, v2
	v_mul_f32_e32 v9, v4, v2
                                        ; implicit-def: $vgpr2_vgpr3_vgpr4_vgpr5
.LBB11_17:
	s_andn2_saveexec_b64 s[10:11], s[4:5]
	s_cbranch_execz .LBB11_19
; %bb.18:
	v_and_b32_e32 v2, 0x7fffffff, v5
	s_mov_b32 s12, 0x42000000
	v_div_scale_f32 v3, s[4:5], v2, v2, s12
	v_rcp_f32_e32 v4, v3
	v_div_scale_f32 v2, vcc, s12, v2, s12
	s_mov_b32 s4, 0x3fb8aa3b
	v_fma_f32 v9, -v3, v4, 1.0
	v_fmac_f32_e32 v4, v9, v4
	v_mul_f32_e32 v9, v2, v4
	v_fma_f32 v10, -v3, v9, v2
	v_fmac_f32_e32 v9, v10, v4
	v_fma_f32 v2, -v3, v9, v2
	v_div_fmas_f32 v2, v2, v4, v9
	v_div_fixup_f32 v2, v2, |v5|, s12
	v_add_f32_e32 v2, -2.0, v2
	v_mov_b32_e32 v3, 0xa2b236d3
	v_fmac_f32_e32 v3, 0xa3056dbb, v2
	v_mov_b32_e32 v4, 0x23056dbb
	v_fmac_f32_e32 v4, v2, v3
	v_add_f32_e32 v4, 0x244df0c1, v4
	v_fma_f32 v3, v2, v4, -v3
	v_add_f32_e32 v3, 0x241f9ee8, v3
	v_fma_f32 v4, v2, v3, -v4
	;; [unrolled: 2-line block ×17, first 2 shown]
	v_add_f32_e32 v3, 0x32c2b494, v3
	v_mul_f32_e64 v9, |v5|, s4
	v_fma_f32 v4, v2, v3, -v4
	v_rndne_f32_e32 v10, v9
	v_add_f32_e32 v4, 0x345c003f, v4
	v_sub_f32_e32 v11, v9, v10
	v_fma_f32 v9, |v5|, s4, -v9
	s_mov_b32 s4, 0x32a5705f
	v_fma_f32 v3, v2, v4, -v3
	v_fma_f32 v9, |v5|, s4, v9
	v_add_f32_e32 v3, 0x3642095e, v3
	v_add_f32_e32 v9, v11, v9
	v_fma_f32 v4, v2, v3, -v4
	v_exp_f32_e32 v9, v9
	v_cvt_i32_f32_e32 v10, v10
	v_add_f32_e32 v4, 0x38907d1c, v4
	v_fma_f32 v3, v2, v4, -v3
	v_add_f32_e32 v3, 0x3b5ccc65, v3
	s_mov_b32 s4, 0xc2ce8ed0
	v_fma_f32 v2, v2, v3, -v4
	v_ldexp_f32 v3, v9, v10
	v_cmp_nlt_f32_e64 vcc, |v5|, s4
	s_mov_b32 s4, 0x42b17218
	v_cndmask_b32_e32 v3, 0, v3, vcc
	v_mov_b32_e32 v9, 0x7f800000
	v_cmp_ngt_f32_e64 vcc, |v5|, s4
	s_mov_b32 s4, 0xf800000
	s_mov_b32 s5, 0x4f800000
	v_cndmask_b32_e32 v3, v9, v3, vcc
	v_mul_f32_e64 v9, |v5|, s5
	v_cmp_lt_f32_e64 vcc, |v5|, s4
	v_cndmask_b32_e64 v5, |v5|, v9, vcc
	v_sqrt_f32_e32 v9, v5
	v_add_f32_e32 v2, 0x3f4df315, v2
	v_sub_f32_e32 v2, v2, v4
	v_mul_f32_e32 v2, 0.5, v2
	v_mul_f32_e32 v2, v3, v2
	v_add_u32_e32 v3, -1, v9
	v_fma_f32 v4, -v3, v9, v5
	v_cmp_ge_f32_e64 s[4:5], 0, v4
	v_add_u32_e32 v4, 1, v9
	v_cndmask_b32_e64 v3, v9, v3, s[4:5]
	v_fma_f32 v9, -v4, v9, v5
	v_cmp_lt_f32_e64 s[4:5], 0, v9
	v_cndmask_b32_e64 v3, v3, v4, s[4:5]
	v_mul_f32_e32 v4, 0x37800000, v3
	v_cndmask_b32_e32 v3, v3, v4, vcc
	v_mov_b32_e32 v4, 0x260
	v_cmp_class_f32_e32 vcc, v5, v4
	v_cndmask_b32_e32 v3, v3, v5, vcc
	v_div_scale_f32 v4, s[4:5], v3, v3, v2
	v_rcp_f32_e32 v5, v4
	v_fma_f32 v9, -v4, v5, 1.0
	v_fmac_f32_e32 v5, v9, v5
	v_div_scale_f32 v9, vcc, v2, v3, v2
	v_mul_f32_e32 v10, v9, v5
	v_fma_f32 v11, -v4, v10, v9
	v_fmac_f32_e32 v10, v11, v5
	v_fma_f32 v4, -v4, v10, v9
	v_div_fmas_f32 v4, v4, v5, v10
	v_div_fixup_f32 v9, v4, v3, v2
.LBB11_19:
	s_or_b64 exec, exec, s[10:11]
	s_add_u32 s4, s16, s6
	s_addc_u32 s5, s17, s7
	global_store_dwordx4 v1, v[6:9], s[4:5]
	s_branch .LBB11_2
.LBB11_20:
	s_mov_b32 s12, s8
	v_mov_b32_e32 v31, v0
	v_mov_b32_e32 v0, s16
	;; [unrolled: 1-line block ×6, first 2 shown]
	s_getpc_b64 s[4:5]
	s_add_u32 s4, s4, _ZN2at6native25elementwise_kernel_helperILb0EZZZNS0_12_GLOBAL__N_130modified_bessel_i0_kernel_cudaERNS_18TensorIteratorBaseEENKUlvE_clEvENKUlvE0_clEvEUlfE_NS0_6memory8policies11unroll_baseILi256ESt5arrayIPcLm2EE23TrivialOffsetCalculatorILi1EjESF_NS8_15LoadWithoutCastENS8_16StoreWithoutCastELi4ELi1EEEEEvT0_T1_@rel32@lo+4
	s_addc_u32 s5, s5, _ZN2at6native25elementwise_kernel_helperILb0EZZZNS0_12_GLOBAL__N_130modified_bessel_i0_kernel_cudaERNS_18TensorIteratorBaseEENKUlvE_clEvENKUlvE0_clEvEUlfE_NS0_6memory8policies11unroll_baseILi256ESt5arrayIPcLm2EE23TrivialOffsetCalculatorILi1EjESF_NS8_15LoadWithoutCastENS8_16StoreWithoutCastELi4ELi1EEEEEvT0_T1_@rel32@hi+12
	s_swappc_b64 s[30:31], s[4:5]
	s_endpgm
	.section	.rodata,"a",@progbits
	.p2align	6, 0x0
	.amdhsa_kernel _ZN2at6native29vectorized_elementwise_kernelILi16EZZZNS0_12_GLOBAL__N_130modified_bessel_i0_kernel_cudaERNS_18TensorIteratorBaseEENKUlvE_clEvENKUlvE0_clEvEUlfE_St5arrayIPcLm2EEEEviT0_T1_
		.amdhsa_group_segment_fixed_size 0
		.amdhsa_private_segment_fixed_size 0
		.amdhsa_kernarg_size 24
		.amdhsa_user_sgpr_count 8
		.amdhsa_user_sgpr_private_segment_buffer 1
		.amdhsa_user_sgpr_dispatch_ptr 0
		.amdhsa_user_sgpr_queue_ptr 0
		.amdhsa_user_sgpr_kernarg_segment_ptr 1
		.amdhsa_user_sgpr_dispatch_id 0
		.amdhsa_user_sgpr_flat_scratch_init 1
		.amdhsa_user_sgpr_kernarg_preload_length 0
		.amdhsa_user_sgpr_kernarg_preload_offset 0
		.amdhsa_user_sgpr_private_segment_size 0
		.amdhsa_uses_dynamic_stack 0
		.amdhsa_system_sgpr_private_segment_wavefront_offset 0
		.amdhsa_system_sgpr_workgroup_id_x 1
		.amdhsa_system_sgpr_workgroup_id_y 0
		.amdhsa_system_sgpr_workgroup_id_z 0
		.amdhsa_system_sgpr_workgroup_info 0
		.amdhsa_system_vgpr_workitem_id 0
		.amdhsa_next_free_vgpr 32
		.amdhsa_next_free_sgpr 33
		.amdhsa_accum_offset 32
		.amdhsa_reserve_vcc 1
		.amdhsa_reserve_flat_scratch 1
		.amdhsa_float_round_mode_32 0
		.amdhsa_float_round_mode_16_64 0
		.amdhsa_float_denorm_mode_32 3
		.amdhsa_float_denorm_mode_16_64 3
		.amdhsa_dx10_clamp 1
		.amdhsa_ieee_mode 1
		.amdhsa_fp16_overflow 0
		.amdhsa_tg_split 0
		.amdhsa_exception_fp_ieee_invalid_op 0
		.amdhsa_exception_fp_denorm_src 0
		.amdhsa_exception_fp_ieee_div_zero 0
		.amdhsa_exception_fp_ieee_overflow 0
		.amdhsa_exception_fp_ieee_underflow 0
		.amdhsa_exception_fp_ieee_inexact 0
		.amdhsa_exception_int_div_zero 0
	.end_amdhsa_kernel
	.section	.text._ZN2at6native29vectorized_elementwise_kernelILi16EZZZNS0_12_GLOBAL__N_130modified_bessel_i0_kernel_cudaERNS_18TensorIteratorBaseEENKUlvE_clEvENKUlvE0_clEvEUlfE_St5arrayIPcLm2EEEEviT0_T1_,"axG",@progbits,_ZN2at6native29vectorized_elementwise_kernelILi16EZZZNS0_12_GLOBAL__N_130modified_bessel_i0_kernel_cudaERNS_18TensorIteratorBaseEENKUlvE_clEvENKUlvE0_clEvEUlfE_St5arrayIPcLm2EEEEviT0_T1_,comdat
.Lfunc_end11:
	.size	_ZN2at6native29vectorized_elementwise_kernelILi16EZZZNS0_12_GLOBAL__N_130modified_bessel_i0_kernel_cudaERNS_18TensorIteratorBaseEENKUlvE_clEvENKUlvE0_clEvEUlfE_St5arrayIPcLm2EEEEviT0_T1_, .Lfunc_end11-_ZN2at6native29vectorized_elementwise_kernelILi16EZZZNS0_12_GLOBAL__N_130modified_bessel_i0_kernel_cudaERNS_18TensorIteratorBaseEENKUlvE_clEvENKUlvE0_clEvEUlfE_St5arrayIPcLm2EEEEviT0_T1_
                                        ; -- End function
	.section	.AMDGPU.csdata,"",@progbits
; Kernel info:
; codeLenInByte = 5988
; NumSgprs: 39
; NumVgprs: 32
; NumAgprs: 0
; TotalNumVgprs: 32
; ScratchSize: 0
; MemoryBound: 0
; FloatMode: 240
; IeeeMode: 1
; LDSByteSize: 0 bytes/workgroup (compile time only)
; SGPRBlocks: 4
; VGPRBlocks: 3
; NumSGPRsForWavesPerEU: 39
; NumVGPRsForWavesPerEU: 32
; AccumOffset: 32
; Occupancy: 8
; WaveLimiterHint : 0
; COMPUTE_PGM_RSRC2:SCRATCH_EN: 0
; COMPUTE_PGM_RSRC2:USER_SGPR: 8
; COMPUTE_PGM_RSRC2:TRAP_HANDLER: 0
; COMPUTE_PGM_RSRC2:TGID_X_EN: 1
; COMPUTE_PGM_RSRC2:TGID_Y_EN: 0
; COMPUTE_PGM_RSRC2:TGID_Z_EN: 0
; COMPUTE_PGM_RSRC2:TIDIG_COMP_CNT: 0
; COMPUTE_PGM_RSRC3_GFX90A:ACCUM_OFFSET: 7
; COMPUTE_PGM_RSRC3_GFX90A:TG_SPLIT: 0
	.section	.text._ZN2at6native29vectorized_elementwise_kernelILi8EZZZNS0_12_GLOBAL__N_130modified_bessel_i0_kernel_cudaERNS_18TensorIteratorBaseEENKUlvE_clEvENKUlvE0_clEvEUlfE_St5arrayIPcLm2EEEEviT0_T1_,"axG",@progbits,_ZN2at6native29vectorized_elementwise_kernelILi8EZZZNS0_12_GLOBAL__N_130modified_bessel_i0_kernel_cudaERNS_18TensorIteratorBaseEENKUlvE_clEvENKUlvE0_clEvEUlfE_St5arrayIPcLm2EEEEviT0_T1_,comdat
	.globl	_ZN2at6native29vectorized_elementwise_kernelILi8EZZZNS0_12_GLOBAL__N_130modified_bessel_i0_kernel_cudaERNS_18TensorIteratorBaseEENKUlvE_clEvENKUlvE0_clEvEUlfE_St5arrayIPcLm2EEEEviT0_T1_ ; -- Begin function _ZN2at6native29vectorized_elementwise_kernelILi8EZZZNS0_12_GLOBAL__N_130modified_bessel_i0_kernel_cudaERNS_18TensorIteratorBaseEENKUlvE_clEvENKUlvE0_clEvEUlfE_St5arrayIPcLm2EEEEviT0_T1_
	.p2align	8
	.type	_ZN2at6native29vectorized_elementwise_kernelILi8EZZZNS0_12_GLOBAL__N_130modified_bessel_i0_kernel_cudaERNS_18TensorIteratorBaseEENKUlvE_clEvENKUlvE0_clEvEUlfE_St5arrayIPcLm2EEEEviT0_T1_,@function
_ZN2at6native29vectorized_elementwise_kernelILi8EZZZNS0_12_GLOBAL__N_130modified_bessel_i0_kernel_cudaERNS_18TensorIteratorBaseEENKUlvE_clEvENKUlvE0_clEvEUlfE_St5arrayIPcLm2EEEEviT0_T1_: ; @_ZN2at6native29vectorized_elementwise_kernelILi8EZZZNS0_12_GLOBAL__N_130modified_bessel_i0_kernel_cudaERNS_18TensorIteratorBaseEENKUlvE_clEvENKUlvE0_clEvEUlfE_St5arrayIPcLm2EEEEviT0_T1_
; %bb.0:
	s_add_u32 flat_scratch_lo, s6, s9
	s_load_dword s6, s[4:5], 0x0
	s_load_dwordx4 s[16:19], s[4:5], 0x8
	s_addc_u32 flat_scratch_hi, s7, 0
	s_add_u32 s0, s0, s9
	s_addc_u32 s1, s1, 0
	s_lshl_b32 s4, s8, 10
	s_waitcnt lgkmcnt(0)
	s_sub_i32 s9, s6, s4
	s_cmpk_gt_i32 s9, 0x3ff
	s_mov_b64 s[6:7], -1
	s_mov_b32 s32, 0
	s_cbranch_scc1 .LBB12_3
; %bb.1:
	s_and_b64 vcc, exec, s[6:7]
	s_cbranch_vccnz .LBB12_20
.LBB12_2:
	s_endpgm
.LBB12_3:
	s_ashr_i32 s5, s4, 31
	s_lshl_b64 s[6:7], s[4:5], 2
	s_add_u32 s4, s18, s6
	s_addc_u32 s5, s19, s7
	v_lshlrev_b32_e32 v1, 4, v0
	global_load_dwordx4 v[2:5], v1, s[4:5]
	s_mov_b32 s4, 0x41000000
                                        ; implicit-def: $vgpr6
	s_waitcnt vmcnt(0)
	v_cmp_le_f32_e64 s[4:5], |v2|, s4
	s_and_saveexec_b64 s[10:11], s[4:5]
	s_xor_b64 s[4:5], exec, s[10:11]
	s_cbranch_execz .LBB12_5
; %bb.4:
	v_fma_f32 v6, |v2|, 0.5, -2.0
	v_mov_b32_e32 v7, 0x24199b15
	v_fmac_f32_e32 v7, 0xa2a2e5b9, v6
	v_mov_b32_e32 v8, 0x22a2e5b9
	v_fmac_f32_e32 v8, v6, v7
	v_add_f32_e32 v8, 0xa58c275c, v8
	v_fma_f32 v7, v6, v8, -v7
	v_add_f32_e32 v7, 0x26f736c5, v7
	v_fma_f32 v8, v6, v7, -v8
	;; [unrolled: 2-line block ×22, first 2 shown]
	v_add_f32_e32 v8, 0xbcc274f8, v8
	s_mov_b32 s10, 0x3fb8aa3b
	v_fma_f32 v7, v6, v8, -v7
	v_mul_f32_e64 v9, |v2|, s10
	v_add_f32_e32 v7, 0x3d49f456, v7
	v_rndne_f32_e32 v10, v9
	v_fma_f32 v8, v6, v7, -v8
	v_sub_f32_e32 v11, v9, v10
	v_fma_f32 v9, |v2|, s10, -v9
	s_mov_b32 s10, 0x32a5705f
	v_add_f32_e32 v8, 0xbdc25b82, v8
	v_fma_f32 v9, |v2|, s10, v9
	v_fma_f32 v7, v6, v8, -v7
	v_add_f32_e32 v9, v11, v9
	v_add_f32_e32 v7, 0x3e2fbd64, v7
	v_exp_f32_e32 v9, v9
	v_cvt_i32_f32_e32 v10, v10
	v_fma_f32 v8, v6, v7, -v8
	v_add_f32_e32 v8, 0xbe9bff5e, v8
	v_fma_f32 v6, v6, v8, -v7
	s_mov_b32 s10, 0xc2ce8ed0
	v_add_f32_e32 v6, 0x3f2d4275, v6
	v_ldexp_f32 v8, v9, v10
	v_cmp_nlt_f32_e64 vcc, |v2|, s10
	s_mov_b32 s10, 0x42b17218
	v_cndmask_b32_e32 v8, 0, v8, vcc
	v_mov_b32_e32 v9, 0x7f800000
	v_cmp_ngt_f32_e64 vcc, |v2|, s10
	v_sub_f32_e32 v6, v6, v7
	v_cndmask_b32_e32 v8, v9, v8, vcc
	v_mul_f32_e32 v6, 0.5, v6
	v_mul_f32_e32 v6, v8, v6
.LBB12_5:
	s_andn2_saveexec_b64 s[10:11], s[4:5]
	s_cbranch_execz .LBB12_7
; %bb.6:
	v_and_b32_e32 v6, 0x7fffffff, v2
	s_mov_b32 s12, 0x42000000
	v_div_scale_f32 v7, s[4:5], v6, v6, s12
	v_rcp_f32_e32 v8, v7
	v_div_scale_f32 v6, vcc, s12, v6, s12
	s_mov_b32 s4, 0x3fb8aa3b
	v_fma_f32 v9, -v7, v8, 1.0
	v_fmac_f32_e32 v8, v9, v8
	v_mul_f32_e32 v9, v6, v8
	v_fma_f32 v10, -v7, v9, v6
	v_fmac_f32_e32 v9, v10, v8
	v_fma_f32 v6, -v7, v9, v6
	v_div_fmas_f32 v6, v6, v8, v9
	v_div_fixup_f32 v6, v6, |v2|, s12
	v_add_f32_e32 v6, -2.0, v6
	v_mov_b32_e32 v7, 0xa2b236d3
	v_fmac_f32_e32 v7, 0xa3056dbb, v6
	v_mov_b32_e32 v8, 0x23056dbb
	v_fmac_f32_e32 v8, v6, v7
	v_add_f32_e32 v8, 0x244df0c1, v8
	v_fma_f32 v7, v6, v8, -v7
	v_add_f32_e32 v7, 0x241f9ee8, v7
	v_fma_f32 v8, v6, v7, -v8
	;; [unrolled: 2-line block ×17, first 2 shown]
	v_add_f32_e32 v7, 0x32c2b494, v7
	v_mul_f32_e64 v9, |v2|, s4
	v_fma_f32 v8, v6, v7, -v8
	v_rndne_f32_e32 v10, v9
	v_add_f32_e32 v8, 0x345c003f, v8
	v_sub_f32_e32 v11, v9, v10
	v_fma_f32 v9, |v2|, s4, -v9
	s_mov_b32 s4, 0x32a5705f
	v_fma_f32 v7, v6, v8, -v7
	v_fma_f32 v9, |v2|, s4, v9
	v_add_f32_e32 v7, 0x3642095e, v7
	v_add_f32_e32 v9, v11, v9
	v_fma_f32 v8, v6, v7, -v8
	v_exp_f32_e32 v9, v9
	v_cvt_i32_f32_e32 v10, v10
	v_add_f32_e32 v8, 0x38907d1c, v8
	v_fma_f32 v7, v6, v8, -v7
	v_add_f32_e32 v7, 0x3b5ccc65, v7
	s_mov_b32 s4, 0xc2ce8ed0
	v_fma_f32 v6, v6, v7, -v8
	v_ldexp_f32 v7, v9, v10
	v_cmp_nlt_f32_e64 vcc, |v2|, s4
	s_mov_b32 s4, 0x42b17218
	v_cndmask_b32_e32 v7, 0, v7, vcc
	v_mov_b32_e32 v9, 0x7f800000
	v_cmp_ngt_f32_e64 vcc, |v2|, s4
	s_mov_b32 s4, 0xf800000
	s_mov_b32 s5, 0x4f800000
	v_cndmask_b32_e32 v7, v9, v7, vcc
	v_mul_f32_e64 v9, |v2|, s5
	v_cmp_lt_f32_e64 vcc, |v2|, s4
	v_cndmask_b32_e64 v2, |v2|, v9, vcc
	v_sqrt_f32_e32 v9, v2
	v_add_f32_e32 v6, 0x3f4df315, v6
	v_sub_f32_e32 v6, v6, v8
	v_mul_f32_e32 v6, 0.5, v6
	v_mul_f32_e32 v6, v7, v6
	v_add_u32_e32 v7, -1, v9
	v_fma_f32 v8, -v7, v9, v2
	v_cmp_ge_f32_e64 s[4:5], 0, v8
	v_add_u32_e32 v8, 1, v9
	v_cndmask_b32_e64 v7, v9, v7, s[4:5]
	v_fma_f32 v9, -v8, v9, v2
	v_cmp_lt_f32_e64 s[4:5], 0, v9
	v_cndmask_b32_e64 v7, v7, v8, s[4:5]
	v_mul_f32_e32 v8, 0x37800000, v7
	v_cndmask_b32_e32 v7, v7, v8, vcc
	v_mov_b32_e32 v8, 0x260
	v_cmp_class_f32_e32 vcc, v2, v8
	v_cndmask_b32_e32 v2, v7, v2, vcc
	v_div_scale_f32 v7, s[4:5], v2, v2, v6
	v_rcp_f32_e32 v8, v7
	v_fma_f32 v9, -v7, v8, 1.0
	v_fmac_f32_e32 v8, v9, v8
	v_div_scale_f32 v9, vcc, v6, v2, v6
	v_mul_f32_e32 v10, v9, v8
	v_fma_f32 v11, -v7, v10, v9
	v_fmac_f32_e32 v10, v11, v8
	v_fma_f32 v7, -v7, v10, v9
	v_div_fmas_f32 v7, v7, v8, v10
	v_div_fixup_f32 v6, v7, v2, v6
.LBB12_7:
	s_or_b64 exec, exec, s[10:11]
	s_mov_b32 s4, 0x41000000
	v_cmp_le_f32_e64 s[4:5], |v3|, s4
	s_and_saveexec_b64 s[10:11], s[4:5]
	s_xor_b64 s[4:5], exec, s[10:11]
	s_cbranch_execz .LBB12_9
; %bb.8:
	v_fma_f32 v2, |v3|, 0.5, -2.0
	v_mov_b32_e32 v7, 0x24199b15
	v_fmac_f32_e32 v7, 0xa2a2e5b9, v2
	v_mov_b32_e32 v8, 0x22a2e5b9
	v_fmac_f32_e32 v8, v2, v7
	v_add_f32_e32 v8, 0xa58c275c, v8
	v_fma_f32 v7, v2, v8, -v7
	v_add_f32_e32 v7, 0x26f736c5, v7
	v_fma_f32 v8, v2, v7, -v8
	;; [unrolled: 2-line block ×22, first 2 shown]
	v_add_f32_e32 v8, 0xbcc274f8, v8
	s_mov_b32 s10, 0x3fb8aa3b
	v_fma_f32 v7, v2, v8, -v7
	v_mul_f32_e64 v9, |v3|, s10
	v_add_f32_e32 v7, 0x3d49f456, v7
	v_rndne_f32_e32 v10, v9
	v_fma_f32 v8, v2, v7, -v8
	v_sub_f32_e32 v11, v9, v10
	v_fma_f32 v9, |v3|, s10, -v9
	s_mov_b32 s10, 0x32a5705f
	v_add_f32_e32 v8, 0xbdc25b82, v8
	v_fma_f32 v9, |v3|, s10, v9
	v_fma_f32 v7, v2, v8, -v7
	v_add_f32_e32 v9, v11, v9
	v_add_f32_e32 v7, 0x3e2fbd64, v7
	v_exp_f32_e32 v9, v9
	v_cvt_i32_f32_e32 v10, v10
	v_fma_f32 v8, v2, v7, -v8
	v_add_f32_e32 v8, 0xbe9bff5e, v8
	v_fma_f32 v2, v2, v8, -v7
	s_mov_b32 s10, 0xc2ce8ed0
	v_add_f32_e32 v2, 0x3f2d4275, v2
	v_ldexp_f32 v8, v9, v10
	v_cmp_nlt_f32_e64 vcc, |v3|, s10
	s_mov_b32 s10, 0x42b17218
	v_cndmask_b32_e32 v8, 0, v8, vcc
	v_mov_b32_e32 v9, 0x7f800000
	v_cmp_ngt_f32_e64 vcc, |v3|, s10
	v_sub_f32_e32 v2, v2, v7
	v_cndmask_b32_e32 v8, v9, v8, vcc
	v_mul_f32_e32 v2, 0.5, v2
	v_mul_f32_e32 v7, v8, v2
.LBB12_9:
	s_andn2_saveexec_b64 s[10:11], s[4:5]
	s_cbranch_execz .LBB12_11
; %bb.10:
	v_and_b32_e32 v2, 0x7fffffff, v3
	s_mov_b32 s12, 0x42000000
	v_div_scale_f32 v7, s[4:5], v2, v2, s12
	v_rcp_f32_e32 v8, v7
	v_div_scale_f32 v2, vcc, s12, v2, s12
	s_mov_b32 s4, 0x3fb8aa3b
	v_fma_f32 v9, -v7, v8, 1.0
	v_fmac_f32_e32 v8, v9, v8
	v_mul_f32_e32 v9, v2, v8
	v_fma_f32 v10, -v7, v9, v2
	v_fmac_f32_e32 v9, v10, v8
	v_fma_f32 v2, -v7, v9, v2
	v_div_fmas_f32 v2, v2, v8, v9
	v_div_fixup_f32 v2, v2, |v3|, s12
	v_add_f32_e32 v2, -2.0, v2
	v_mov_b32_e32 v7, 0xa2b236d3
	v_fmac_f32_e32 v7, 0xa3056dbb, v2
	v_mov_b32_e32 v8, 0x23056dbb
	v_fmac_f32_e32 v8, v2, v7
	v_add_f32_e32 v8, 0x244df0c1, v8
	v_fma_f32 v7, v2, v8, -v7
	v_add_f32_e32 v7, 0x241f9ee8, v7
	v_fma_f32 v8, v2, v7, -v8
	;; [unrolled: 2-line block ×17, first 2 shown]
	v_add_f32_e32 v7, 0x32c2b494, v7
	v_mul_f32_e64 v9, |v3|, s4
	v_fma_f32 v8, v2, v7, -v8
	v_rndne_f32_e32 v10, v9
	v_add_f32_e32 v8, 0x345c003f, v8
	v_sub_f32_e32 v11, v9, v10
	v_fma_f32 v9, |v3|, s4, -v9
	s_mov_b32 s4, 0x32a5705f
	v_fma_f32 v7, v2, v8, -v7
	v_fma_f32 v9, |v3|, s4, v9
	v_add_f32_e32 v7, 0x3642095e, v7
	v_add_f32_e32 v9, v11, v9
	v_fma_f32 v8, v2, v7, -v8
	v_exp_f32_e32 v9, v9
	v_cvt_i32_f32_e32 v10, v10
	v_add_f32_e32 v8, 0x38907d1c, v8
	v_fma_f32 v7, v2, v8, -v7
	v_add_f32_e32 v7, 0x3b5ccc65, v7
	s_mov_b32 s4, 0xc2ce8ed0
	v_fma_f32 v2, v2, v7, -v8
	v_ldexp_f32 v7, v9, v10
	v_cmp_nlt_f32_e64 vcc, |v3|, s4
	s_mov_b32 s4, 0x42b17218
	v_cndmask_b32_e32 v7, 0, v7, vcc
	v_mov_b32_e32 v9, 0x7f800000
	v_cmp_ngt_f32_e64 vcc, |v3|, s4
	s_mov_b32 s4, 0xf800000
	s_mov_b32 s5, 0x4f800000
	v_cndmask_b32_e32 v7, v9, v7, vcc
	v_mul_f32_e64 v9, |v3|, s5
	v_cmp_lt_f32_e64 vcc, |v3|, s4
	v_cndmask_b32_e64 v3, |v3|, v9, vcc
	v_sqrt_f32_e32 v9, v3
	v_add_f32_e32 v2, 0x3f4df315, v2
	v_sub_f32_e32 v2, v2, v8
	v_mul_f32_e32 v2, 0.5, v2
	v_mul_f32_e32 v2, v7, v2
	v_add_u32_e32 v7, -1, v9
	v_fma_f32 v8, -v7, v9, v3
	v_cmp_ge_f32_e64 s[4:5], 0, v8
	v_add_u32_e32 v8, 1, v9
	v_cndmask_b32_e64 v7, v9, v7, s[4:5]
	v_fma_f32 v9, -v8, v9, v3
	v_cmp_lt_f32_e64 s[4:5], 0, v9
	v_cndmask_b32_e64 v7, v7, v8, s[4:5]
	v_mul_f32_e32 v8, 0x37800000, v7
	v_cndmask_b32_e32 v7, v7, v8, vcc
	v_mov_b32_e32 v8, 0x260
	v_cmp_class_f32_e32 vcc, v3, v8
	v_cndmask_b32_e32 v3, v7, v3, vcc
	v_div_scale_f32 v7, s[4:5], v3, v3, v2
	v_rcp_f32_e32 v8, v7
	v_fma_f32 v9, -v7, v8, 1.0
	v_fmac_f32_e32 v8, v9, v8
	v_div_scale_f32 v9, vcc, v2, v3, v2
	v_mul_f32_e32 v10, v9, v8
	v_fma_f32 v11, -v7, v10, v9
	v_fmac_f32_e32 v10, v11, v8
	v_fma_f32 v7, -v7, v10, v9
	v_div_fmas_f32 v7, v7, v8, v10
	v_div_fixup_f32 v7, v7, v3, v2
.LBB12_11:
	s_or_b64 exec, exec, s[10:11]
	s_mov_b32 s4, 0x41000000
	v_cmp_le_f32_e64 s[4:5], |v4|, s4
	s_and_saveexec_b64 s[10:11], s[4:5]
	s_xor_b64 s[4:5], exec, s[10:11]
	s_cbranch_execz .LBB12_13
; %bb.12:
	v_fma_f32 v2, |v4|, 0.5, -2.0
	v_mov_b32_e32 v3, 0x24199b15
	v_fmac_f32_e32 v3, 0xa2a2e5b9, v2
	v_mov_b32_e32 v8, 0x22a2e5b9
	v_fmac_f32_e32 v8, v2, v3
	v_add_f32_e32 v8, 0xa58c275c, v8
	v_fma_f32 v3, v2, v8, -v3
	v_add_f32_e32 v3, 0x26f736c5, v3
	v_fma_f32 v8, v2, v3, -v8
	v_add_f32_e32 v8, 0xa8528116, v8
	v_fma_f32 v3, v2, v8, -v3
	v_add_f32_e32 v3, 0x29acda32, v3
	v_fma_f32 v8, v2, v3, -v8
	v_add_f32_e32 v8, 0xab08b263, v8
	v_fma_f32 v3, v2, v8, -v3
	v_add_f32_e32 v3, 0x2c4ff17f, v3
	v_fma_f32 v8, v2, v3, -v8
	v_add_f32_e32 v8, 0xad97e4ac, v8
	v_fma_f32 v3, v2, v8, -v3
	v_add_f32_e32 v3, 0x2ed4c5f6, v3
	v_fma_f32 v8, v2, v3, -v8
	v_add_f32_e32 v8, 0xb00ea7f1, v8
	v_fma_f32 v3, v2, v8, -v3
	v_add_f32_e32 v3, 0x3136c81d, v3
	v_fma_f32 v8, v2, v3, -v8
	v_add_f32_e32 v8, 0xb25f57b4, v8
	v_fma_f32 v3, v2, v8, -v3
	v_add_f32_e32 v3, 0x3381dbb5, v3
	v_fma_f32 v8, v2, v3, -v8
	v_add_f32_e32 v8, 0xb48f631c, v8
	v_fma_f32 v3, v2, v8, -v3
	v_add_f32_e32 v3, 0x3595f925, v3
	v_fma_f32 v8, v2, v3, -v8
	v_add_f32_e32 v8, 0xb694337e, v8
	v_fma_f32 v3, v2, v8, -v3
	v_add_f32_e32 v3, 0x3789fac6, v3
	v_fma_f32 v8, v2, v3, -v8
	v_add_f32_e32 v8, 0xb8715933, v8
	v_fma_f32 v3, v2, v8, -v3
	v_add_f32_e32 v3, 0x3945a8dc, v3
	v_fma_f32 v8, v2, v3, -v8
	v_add_f32_e32 v8, 0xba1717e9, v8
	v_fma_f32 v3, v2, v8, -v3
	v_add_f32_e32 v3, 0x3ad6e3ac, v3
	v_fma_f32 v8, v2, v3, -v8
	v_add_f32_e32 v8, 0xbb8db2f1, v8
	v_fma_f32 v3, v2, v8, -v3
	v_add_f32_e32 v3, 0x3c2ccb10, v3
	v_fma_f32 v8, v2, v3, -v8
	v_add_f32_e32 v8, 0xbcc274f8, v8
	s_mov_b32 s10, 0x3fb8aa3b
	v_fma_f32 v3, v2, v8, -v3
	v_mul_f32_e64 v9, |v4|, s10
	v_add_f32_e32 v3, 0x3d49f456, v3
	v_rndne_f32_e32 v10, v9
	v_fma_f32 v8, v2, v3, -v8
	v_sub_f32_e32 v11, v9, v10
	v_fma_f32 v9, |v4|, s10, -v9
	s_mov_b32 s10, 0x32a5705f
	v_add_f32_e32 v8, 0xbdc25b82, v8
	v_fma_f32 v9, |v4|, s10, v9
	v_fma_f32 v3, v2, v8, -v3
	v_add_f32_e32 v9, v11, v9
	v_add_f32_e32 v3, 0x3e2fbd64, v3
	v_exp_f32_e32 v9, v9
	v_cvt_i32_f32_e32 v10, v10
	v_fma_f32 v8, v2, v3, -v8
	v_add_f32_e32 v8, 0xbe9bff5e, v8
	v_fma_f32 v2, v2, v8, -v3
	s_mov_b32 s10, 0xc2ce8ed0
	v_add_f32_e32 v2, 0x3f2d4275, v2
	v_ldexp_f32 v8, v9, v10
	v_cmp_nlt_f32_e64 vcc, |v4|, s10
	s_mov_b32 s10, 0x42b17218
	v_cndmask_b32_e32 v8, 0, v8, vcc
	v_mov_b32_e32 v9, 0x7f800000
	v_cmp_ngt_f32_e64 vcc, |v4|, s10
	v_sub_f32_e32 v2, v2, v3
	v_cndmask_b32_e32 v8, v9, v8, vcc
	v_mul_f32_e32 v2, 0.5, v2
	v_mul_f32_e32 v8, v8, v2
.LBB12_13:
	s_andn2_saveexec_b64 s[10:11], s[4:5]
	s_cbranch_execz .LBB12_15
; %bb.14:
	v_and_b32_e32 v2, 0x7fffffff, v4
	s_mov_b32 s12, 0x42000000
	v_div_scale_f32 v3, s[4:5], v2, v2, s12
	v_rcp_f32_e32 v8, v3
	v_div_scale_f32 v2, vcc, s12, v2, s12
	s_mov_b32 s4, 0x3fb8aa3b
	v_fma_f32 v9, -v3, v8, 1.0
	v_fmac_f32_e32 v8, v9, v8
	v_mul_f32_e32 v9, v2, v8
	v_fma_f32 v10, -v3, v9, v2
	v_fmac_f32_e32 v9, v10, v8
	v_fma_f32 v2, -v3, v9, v2
	v_div_fmas_f32 v2, v2, v8, v9
	v_div_fixup_f32 v2, v2, |v4|, s12
	v_add_f32_e32 v2, -2.0, v2
	v_mov_b32_e32 v3, 0xa2b236d3
	v_fmac_f32_e32 v3, 0xa3056dbb, v2
	v_mov_b32_e32 v8, 0x23056dbb
	v_fmac_f32_e32 v8, v2, v3
	v_add_f32_e32 v8, 0x244df0c1, v8
	v_fma_f32 v3, v2, v8, -v3
	v_add_f32_e32 v3, 0x241f9ee8, v3
	v_fma_f32 v8, v2, v3, -v8
	;; [unrolled: 2-line block ×17, first 2 shown]
	v_add_f32_e32 v3, 0x32c2b494, v3
	v_mul_f32_e64 v9, |v4|, s4
	v_fma_f32 v8, v2, v3, -v8
	v_rndne_f32_e32 v10, v9
	v_add_f32_e32 v8, 0x345c003f, v8
	v_sub_f32_e32 v11, v9, v10
	v_fma_f32 v9, |v4|, s4, -v9
	s_mov_b32 s4, 0x32a5705f
	v_fma_f32 v3, v2, v8, -v3
	v_fma_f32 v9, |v4|, s4, v9
	v_add_f32_e32 v3, 0x3642095e, v3
	v_add_f32_e32 v9, v11, v9
	v_fma_f32 v8, v2, v3, -v8
	v_exp_f32_e32 v9, v9
	v_cvt_i32_f32_e32 v10, v10
	v_add_f32_e32 v8, 0x38907d1c, v8
	v_fma_f32 v3, v2, v8, -v3
	v_add_f32_e32 v3, 0x3b5ccc65, v3
	s_mov_b32 s4, 0xc2ce8ed0
	v_fma_f32 v2, v2, v3, -v8
	v_ldexp_f32 v3, v9, v10
	v_cmp_nlt_f32_e64 vcc, |v4|, s4
	s_mov_b32 s4, 0x42b17218
	v_cndmask_b32_e32 v3, 0, v3, vcc
	v_mov_b32_e32 v9, 0x7f800000
	v_cmp_ngt_f32_e64 vcc, |v4|, s4
	s_mov_b32 s4, 0xf800000
	s_mov_b32 s5, 0x4f800000
	v_cndmask_b32_e32 v3, v9, v3, vcc
	v_mul_f32_e64 v9, |v4|, s5
	v_cmp_lt_f32_e64 vcc, |v4|, s4
	v_cndmask_b32_e64 v4, |v4|, v9, vcc
	v_sqrt_f32_e32 v9, v4
	v_add_f32_e32 v2, 0x3f4df315, v2
	v_sub_f32_e32 v2, v2, v8
	v_mul_f32_e32 v2, 0.5, v2
	v_mul_f32_e32 v2, v3, v2
	v_add_u32_e32 v3, -1, v9
	v_fma_f32 v8, -v3, v9, v4
	v_cmp_ge_f32_e64 s[4:5], 0, v8
	v_add_u32_e32 v8, 1, v9
	v_cndmask_b32_e64 v3, v9, v3, s[4:5]
	v_fma_f32 v9, -v8, v9, v4
	v_cmp_lt_f32_e64 s[4:5], 0, v9
	v_cndmask_b32_e64 v3, v3, v8, s[4:5]
	v_mul_f32_e32 v8, 0x37800000, v3
	v_cndmask_b32_e32 v3, v3, v8, vcc
	v_mov_b32_e32 v8, 0x260
	v_cmp_class_f32_e32 vcc, v4, v8
	v_cndmask_b32_e32 v3, v3, v4, vcc
	v_div_scale_f32 v4, s[4:5], v3, v3, v2
	v_rcp_f32_e32 v8, v4
	v_fma_f32 v9, -v4, v8, 1.0
	v_fmac_f32_e32 v8, v9, v8
	v_div_scale_f32 v9, vcc, v2, v3, v2
	v_mul_f32_e32 v10, v9, v8
	v_fma_f32 v11, -v4, v10, v9
	v_fmac_f32_e32 v10, v11, v8
	v_fma_f32 v4, -v4, v10, v9
	v_div_fmas_f32 v4, v4, v8, v10
	v_div_fixup_f32 v8, v4, v3, v2
.LBB12_15:
	s_or_b64 exec, exec, s[10:11]
	s_mov_b32 s4, 0x41000000
	v_cmp_le_f32_e64 s[4:5], |v5|, s4
	s_and_saveexec_b64 s[10:11], s[4:5]
	s_xor_b64 s[4:5], exec, s[10:11]
	s_cbranch_execz .LBB12_17
; %bb.16:
	v_fma_f32 v2, |v5|, 0.5, -2.0
	v_mov_b32_e32 v3, 0x24199b15
	v_fmac_f32_e32 v3, 0xa2a2e5b9, v2
	v_mov_b32_e32 v4, 0x22a2e5b9
	v_fmac_f32_e32 v4, v2, v3
	v_add_f32_e32 v4, 0xa58c275c, v4
	v_fma_f32 v3, v2, v4, -v3
	v_add_f32_e32 v3, 0x26f736c5, v3
	v_fma_f32 v4, v2, v3, -v4
	;; [unrolled: 2-line block ×22, first 2 shown]
	v_add_f32_e32 v4, 0xbcc274f8, v4
	s_mov_b32 s10, 0x3fb8aa3b
	v_fma_f32 v3, v2, v4, -v3
	v_mul_f32_e64 v9, |v5|, s10
	v_add_f32_e32 v3, 0x3d49f456, v3
	v_rndne_f32_e32 v10, v9
	v_fma_f32 v4, v2, v3, -v4
	v_sub_f32_e32 v11, v9, v10
	v_fma_f32 v9, |v5|, s10, -v9
	s_mov_b32 s10, 0x32a5705f
	v_add_f32_e32 v4, 0xbdc25b82, v4
	v_fma_f32 v9, |v5|, s10, v9
	v_fma_f32 v3, v2, v4, -v3
	v_add_f32_e32 v9, v11, v9
	v_add_f32_e32 v3, 0x3e2fbd64, v3
	v_exp_f32_e32 v9, v9
	v_cvt_i32_f32_e32 v10, v10
	v_fma_f32 v4, v2, v3, -v4
	v_add_f32_e32 v4, 0xbe9bff5e, v4
	v_fma_f32 v2, v2, v4, -v3
	s_mov_b32 s10, 0xc2ce8ed0
	v_add_f32_e32 v2, 0x3f2d4275, v2
	v_ldexp_f32 v4, v9, v10
	v_cmp_nlt_f32_e64 vcc, |v5|, s10
	s_mov_b32 s10, 0x42b17218
	v_cndmask_b32_e32 v4, 0, v4, vcc
	v_mov_b32_e32 v9, 0x7f800000
	v_cmp_ngt_f32_e64 vcc, |v5|, s10
	v_sub_f32_e32 v2, v2, v3
	v_cndmask_b32_e32 v4, v9, v4, vcc
	v_mul_f32_e32 v2, 0.5, v2
	v_mul_f32_e32 v9, v4, v2
                                        ; implicit-def: $vgpr2_vgpr3_vgpr4_vgpr5
.LBB12_17:
	s_andn2_saveexec_b64 s[10:11], s[4:5]
	s_cbranch_execz .LBB12_19
; %bb.18:
	v_and_b32_e32 v2, 0x7fffffff, v5
	s_mov_b32 s12, 0x42000000
	v_div_scale_f32 v3, s[4:5], v2, v2, s12
	v_rcp_f32_e32 v4, v3
	v_div_scale_f32 v2, vcc, s12, v2, s12
	s_mov_b32 s4, 0x3fb8aa3b
	v_fma_f32 v9, -v3, v4, 1.0
	v_fmac_f32_e32 v4, v9, v4
	v_mul_f32_e32 v9, v2, v4
	v_fma_f32 v10, -v3, v9, v2
	v_fmac_f32_e32 v9, v10, v4
	v_fma_f32 v2, -v3, v9, v2
	v_div_fmas_f32 v2, v2, v4, v9
	v_div_fixup_f32 v2, v2, |v5|, s12
	v_add_f32_e32 v2, -2.0, v2
	v_mov_b32_e32 v3, 0xa2b236d3
	v_fmac_f32_e32 v3, 0xa3056dbb, v2
	v_mov_b32_e32 v4, 0x23056dbb
	v_fmac_f32_e32 v4, v2, v3
	v_add_f32_e32 v4, 0x244df0c1, v4
	v_fma_f32 v3, v2, v4, -v3
	v_add_f32_e32 v3, 0x241f9ee8, v3
	v_fma_f32 v4, v2, v3, -v4
	;; [unrolled: 2-line block ×17, first 2 shown]
	v_add_f32_e32 v3, 0x32c2b494, v3
	v_mul_f32_e64 v9, |v5|, s4
	v_fma_f32 v4, v2, v3, -v4
	v_rndne_f32_e32 v10, v9
	v_add_f32_e32 v4, 0x345c003f, v4
	v_sub_f32_e32 v11, v9, v10
	v_fma_f32 v9, |v5|, s4, -v9
	s_mov_b32 s4, 0x32a5705f
	v_fma_f32 v3, v2, v4, -v3
	v_fma_f32 v9, |v5|, s4, v9
	v_add_f32_e32 v3, 0x3642095e, v3
	v_add_f32_e32 v9, v11, v9
	v_fma_f32 v4, v2, v3, -v4
	v_exp_f32_e32 v9, v9
	v_cvt_i32_f32_e32 v10, v10
	v_add_f32_e32 v4, 0x38907d1c, v4
	v_fma_f32 v3, v2, v4, -v3
	v_add_f32_e32 v3, 0x3b5ccc65, v3
	s_mov_b32 s4, 0xc2ce8ed0
	v_fma_f32 v2, v2, v3, -v4
	v_ldexp_f32 v3, v9, v10
	v_cmp_nlt_f32_e64 vcc, |v5|, s4
	s_mov_b32 s4, 0x42b17218
	v_cndmask_b32_e32 v3, 0, v3, vcc
	v_mov_b32_e32 v9, 0x7f800000
	v_cmp_ngt_f32_e64 vcc, |v5|, s4
	s_mov_b32 s4, 0xf800000
	s_mov_b32 s5, 0x4f800000
	v_cndmask_b32_e32 v3, v9, v3, vcc
	v_mul_f32_e64 v9, |v5|, s5
	v_cmp_lt_f32_e64 vcc, |v5|, s4
	v_cndmask_b32_e64 v5, |v5|, v9, vcc
	v_sqrt_f32_e32 v9, v5
	v_add_f32_e32 v2, 0x3f4df315, v2
	v_sub_f32_e32 v2, v2, v4
	v_mul_f32_e32 v2, 0.5, v2
	v_mul_f32_e32 v2, v3, v2
	v_add_u32_e32 v3, -1, v9
	v_fma_f32 v4, -v3, v9, v5
	v_cmp_ge_f32_e64 s[4:5], 0, v4
	v_add_u32_e32 v4, 1, v9
	v_cndmask_b32_e64 v3, v9, v3, s[4:5]
	v_fma_f32 v9, -v4, v9, v5
	v_cmp_lt_f32_e64 s[4:5], 0, v9
	v_cndmask_b32_e64 v3, v3, v4, s[4:5]
	v_mul_f32_e32 v4, 0x37800000, v3
	v_cndmask_b32_e32 v3, v3, v4, vcc
	v_mov_b32_e32 v4, 0x260
	v_cmp_class_f32_e32 vcc, v5, v4
	v_cndmask_b32_e32 v3, v3, v5, vcc
	v_div_scale_f32 v4, s[4:5], v3, v3, v2
	v_rcp_f32_e32 v5, v4
	v_fma_f32 v9, -v4, v5, 1.0
	v_fmac_f32_e32 v5, v9, v5
	v_div_scale_f32 v9, vcc, v2, v3, v2
	v_mul_f32_e32 v10, v9, v5
	v_fma_f32 v11, -v4, v10, v9
	v_fmac_f32_e32 v10, v11, v5
	v_fma_f32 v4, -v4, v10, v9
	v_div_fmas_f32 v4, v4, v5, v10
	v_div_fixup_f32 v9, v4, v3, v2
.LBB12_19:
	s_or_b64 exec, exec, s[10:11]
	s_add_u32 s4, s16, s6
	s_addc_u32 s5, s17, s7
	global_store_dwordx4 v1, v[6:9], s[4:5]
	s_branch .LBB12_2
.LBB12_20:
	s_mov_b32 s12, s8
	v_mov_b32_e32 v31, v0
	v_mov_b32_e32 v0, s16
	;; [unrolled: 1-line block ×6, first 2 shown]
	s_getpc_b64 s[4:5]
	s_add_u32 s4, s4, _ZN2at6native25elementwise_kernel_helperILb0EZZZNS0_12_GLOBAL__N_130modified_bessel_i0_kernel_cudaERNS_18TensorIteratorBaseEENKUlvE_clEvENKUlvE0_clEvEUlfE_NS0_6memory8policies11unroll_baseILi256ESt5arrayIPcLm2EE23TrivialOffsetCalculatorILi1EjESF_NS8_15LoadWithoutCastENS8_16StoreWithoutCastELi4ELi1EEEEEvT0_T1_@rel32@lo+4
	s_addc_u32 s5, s5, _ZN2at6native25elementwise_kernel_helperILb0EZZZNS0_12_GLOBAL__N_130modified_bessel_i0_kernel_cudaERNS_18TensorIteratorBaseEENKUlvE_clEvENKUlvE0_clEvEUlfE_NS0_6memory8policies11unroll_baseILi256ESt5arrayIPcLm2EE23TrivialOffsetCalculatorILi1EjESF_NS8_15LoadWithoutCastENS8_16StoreWithoutCastELi4ELi1EEEEEvT0_T1_@rel32@hi+12
	s_swappc_b64 s[30:31], s[4:5]
	s_endpgm
	.section	.rodata,"a",@progbits
	.p2align	6, 0x0
	.amdhsa_kernel _ZN2at6native29vectorized_elementwise_kernelILi8EZZZNS0_12_GLOBAL__N_130modified_bessel_i0_kernel_cudaERNS_18TensorIteratorBaseEENKUlvE_clEvENKUlvE0_clEvEUlfE_St5arrayIPcLm2EEEEviT0_T1_
		.amdhsa_group_segment_fixed_size 0
		.amdhsa_private_segment_fixed_size 0
		.amdhsa_kernarg_size 24
		.amdhsa_user_sgpr_count 8
		.amdhsa_user_sgpr_private_segment_buffer 1
		.amdhsa_user_sgpr_dispatch_ptr 0
		.amdhsa_user_sgpr_queue_ptr 0
		.amdhsa_user_sgpr_kernarg_segment_ptr 1
		.amdhsa_user_sgpr_dispatch_id 0
		.amdhsa_user_sgpr_flat_scratch_init 1
		.amdhsa_user_sgpr_kernarg_preload_length 0
		.amdhsa_user_sgpr_kernarg_preload_offset 0
		.amdhsa_user_sgpr_private_segment_size 0
		.amdhsa_uses_dynamic_stack 0
		.amdhsa_system_sgpr_private_segment_wavefront_offset 0
		.amdhsa_system_sgpr_workgroup_id_x 1
		.amdhsa_system_sgpr_workgroup_id_y 0
		.amdhsa_system_sgpr_workgroup_id_z 0
		.amdhsa_system_sgpr_workgroup_info 0
		.amdhsa_system_vgpr_workitem_id 0
		.amdhsa_next_free_vgpr 32
		.amdhsa_next_free_sgpr 33
		.amdhsa_accum_offset 32
		.amdhsa_reserve_vcc 1
		.amdhsa_reserve_flat_scratch 1
		.amdhsa_float_round_mode_32 0
		.amdhsa_float_round_mode_16_64 0
		.amdhsa_float_denorm_mode_32 3
		.amdhsa_float_denorm_mode_16_64 3
		.amdhsa_dx10_clamp 1
		.amdhsa_ieee_mode 1
		.amdhsa_fp16_overflow 0
		.amdhsa_tg_split 0
		.amdhsa_exception_fp_ieee_invalid_op 0
		.amdhsa_exception_fp_denorm_src 0
		.amdhsa_exception_fp_ieee_div_zero 0
		.amdhsa_exception_fp_ieee_overflow 0
		.amdhsa_exception_fp_ieee_underflow 0
		.amdhsa_exception_fp_ieee_inexact 0
		.amdhsa_exception_int_div_zero 0
	.end_amdhsa_kernel
	.section	.text._ZN2at6native29vectorized_elementwise_kernelILi8EZZZNS0_12_GLOBAL__N_130modified_bessel_i0_kernel_cudaERNS_18TensorIteratorBaseEENKUlvE_clEvENKUlvE0_clEvEUlfE_St5arrayIPcLm2EEEEviT0_T1_,"axG",@progbits,_ZN2at6native29vectorized_elementwise_kernelILi8EZZZNS0_12_GLOBAL__N_130modified_bessel_i0_kernel_cudaERNS_18TensorIteratorBaseEENKUlvE_clEvENKUlvE0_clEvEUlfE_St5arrayIPcLm2EEEEviT0_T1_,comdat
.Lfunc_end12:
	.size	_ZN2at6native29vectorized_elementwise_kernelILi8EZZZNS0_12_GLOBAL__N_130modified_bessel_i0_kernel_cudaERNS_18TensorIteratorBaseEENKUlvE_clEvENKUlvE0_clEvEUlfE_St5arrayIPcLm2EEEEviT0_T1_, .Lfunc_end12-_ZN2at6native29vectorized_elementwise_kernelILi8EZZZNS0_12_GLOBAL__N_130modified_bessel_i0_kernel_cudaERNS_18TensorIteratorBaseEENKUlvE_clEvENKUlvE0_clEvEUlfE_St5arrayIPcLm2EEEEviT0_T1_
                                        ; -- End function
	.section	.AMDGPU.csdata,"",@progbits
; Kernel info:
; codeLenInByte = 5988
; NumSgprs: 39
; NumVgprs: 32
; NumAgprs: 0
; TotalNumVgprs: 32
; ScratchSize: 0
; MemoryBound: 0
; FloatMode: 240
; IeeeMode: 1
; LDSByteSize: 0 bytes/workgroup (compile time only)
; SGPRBlocks: 4
; VGPRBlocks: 3
; NumSGPRsForWavesPerEU: 39
; NumVGPRsForWavesPerEU: 32
; AccumOffset: 32
; Occupancy: 8
; WaveLimiterHint : 0
; COMPUTE_PGM_RSRC2:SCRATCH_EN: 0
; COMPUTE_PGM_RSRC2:USER_SGPR: 8
; COMPUTE_PGM_RSRC2:TRAP_HANDLER: 0
; COMPUTE_PGM_RSRC2:TGID_X_EN: 1
; COMPUTE_PGM_RSRC2:TGID_Y_EN: 0
; COMPUTE_PGM_RSRC2:TGID_Z_EN: 0
; COMPUTE_PGM_RSRC2:TIDIG_COMP_CNT: 0
; COMPUTE_PGM_RSRC3_GFX90A:ACCUM_OFFSET: 7
; COMPUTE_PGM_RSRC3_GFX90A:TG_SPLIT: 0
	.section	.text._ZN2at6native29vectorized_elementwise_kernelILi4EZZZNS0_12_GLOBAL__N_130modified_bessel_i0_kernel_cudaERNS_18TensorIteratorBaseEENKUlvE_clEvENKUlvE0_clEvEUlfE_St5arrayIPcLm2EEEEviT0_T1_,"axG",@progbits,_ZN2at6native29vectorized_elementwise_kernelILi4EZZZNS0_12_GLOBAL__N_130modified_bessel_i0_kernel_cudaERNS_18TensorIteratorBaseEENKUlvE_clEvENKUlvE0_clEvEUlfE_St5arrayIPcLm2EEEEviT0_T1_,comdat
	.globl	_ZN2at6native29vectorized_elementwise_kernelILi4EZZZNS0_12_GLOBAL__N_130modified_bessel_i0_kernel_cudaERNS_18TensorIteratorBaseEENKUlvE_clEvENKUlvE0_clEvEUlfE_St5arrayIPcLm2EEEEviT0_T1_ ; -- Begin function _ZN2at6native29vectorized_elementwise_kernelILi4EZZZNS0_12_GLOBAL__N_130modified_bessel_i0_kernel_cudaERNS_18TensorIteratorBaseEENKUlvE_clEvENKUlvE0_clEvEUlfE_St5arrayIPcLm2EEEEviT0_T1_
	.p2align	8
	.type	_ZN2at6native29vectorized_elementwise_kernelILi4EZZZNS0_12_GLOBAL__N_130modified_bessel_i0_kernel_cudaERNS_18TensorIteratorBaseEENKUlvE_clEvENKUlvE0_clEvEUlfE_St5arrayIPcLm2EEEEviT0_T1_,@function
_ZN2at6native29vectorized_elementwise_kernelILi4EZZZNS0_12_GLOBAL__N_130modified_bessel_i0_kernel_cudaERNS_18TensorIteratorBaseEENKUlvE_clEvENKUlvE0_clEvEUlfE_St5arrayIPcLm2EEEEviT0_T1_: ; @_ZN2at6native29vectorized_elementwise_kernelILi4EZZZNS0_12_GLOBAL__N_130modified_bessel_i0_kernel_cudaERNS_18TensorIteratorBaseEENKUlvE_clEvENKUlvE0_clEvEUlfE_St5arrayIPcLm2EEEEviT0_T1_
; %bb.0:
	s_add_u32 flat_scratch_lo, s6, s9
	s_load_dword s6, s[4:5], 0x0
	s_load_dwordx4 s[16:19], s[4:5], 0x8
	s_addc_u32 flat_scratch_hi, s7, 0
	s_add_u32 s0, s0, s9
	s_addc_u32 s1, s1, 0
	s_lshl_b32 s4, s8, 10
	s_waitcnt lgkmcnt(0)
	s_sub_i32 s9, s6, s4
	s_cmpk_gt_i32 s9, 0x3ff
	s_mov_b64 s[6:7], -1
	s_mov_b32 s32, 0
	s_cbranch_scc1 .LBB13_3
; %bb.1:
	s_and_b64 vcc, exec, s[6:7]
	s_cbranch_vccnz .LBB13_20
.LBB13_2:
	s_endpgm
.LBB13_3:
	s_ashr_i32 s5, s4, 31
	s_lshl_b64 s[6:7], s[4:5], 2
	s_add_u32 s4, s18, s6
	s_addc_u32 s5, s19, s7
	v_lshlrev_b32_e32 v1, 4, v0
	global_load_dwordx4 v[2:5], v1, s[4:5]
	s_mov_b32 s4, 0x41000000
                                        ; implicit-def: $vgpr6
	s_waitcnt vmcnt(0)
	v_cmp_le_f32_e64 s[4:5], |v2|, s4
	s_and_saveexec_b64 s[10:11], s[4:5]
	s_xor_b64 s[4:5], exec, s[10:11]
	s_cbranch_execz .LBB13_5
; %bb.4:
	v_fma_f32 v6, |v2|, 0.5, -2.0
	v_mov_b32_e32 v7, 0x24199b15
	v_fmac_f32_e32 v7, 0xa2a2e5b9, v6
	v_mov_b32_e32 v8, 0x22a2e5b9
	v_fmac_f32_e32 v8, v6, v7
	v_add_f32_e32 v8, 0xa58c275c, v8
	v_fma_f32 v7, v6, v8, -v7
	v_add_f32_e32 v7, 0x26f736c5, v7
	v_fma_f32 v8, v6, v7, -v8
	;; [unrolled: 2-line block ×22, first 2 shown]
	v_add_f32_e32 v8, 0xbcc274f8, v8
	s_mov_b32 s10, 0x3fb8aa3b
	v_fma_f32 v7, v6, v8, -v7
	v_mul_f32_e64 v9, |v2|, s10
	v_add_f32_e32 v7, 0x3d49f456, v7
	v_rndne_f32_e32 v10, v9
	v_fma_f32 v8, v6, v7, -v8
	v_sub_f32_e32 v11, v9, v10
	v_fma_f32 v9, |v2|, s10, -v9
	s_mov_b32 s10, 0x32a5705f
	v_add_f32_e32 v8, 0xbdc25b82, v8
	v_fma_f32 v9, |v2|, s10, v9
	v_fma_f32 v7, v6, v8, -v7
	v_add_f32_e32 v9, v11, v9
	v_add_f32_e32 v7, 0x3e2fbd64, v7
	v_exp_f32_e32 v9, v9
	v_cvt_i32_f32_e32 v10, v10
	v_fma_f32 v8, v6, v7, -v8
	v_add_f32_e32 v8, 0xbe9bff5e, v8
	v_fma_f32 v6, v6, v8, -v7
	s_mov_b32 s10, 0xc2ce8ed0
	v_add_f32_e32 v6, 0x3f2d4275, v6
	v_ldexp_f32 v8, v9, v10
	v_cmp_nlt_f32_e64 vcc, |v2|, s10
	s_mov_b32 s10, 0x42b17218
	v_cndmask_b32_e32 v8, 0, v8, vcc
	v_mov_b32_e32 v9, 0x7f800000
	v_cmp_ngt_f32_e64 vcc, |v2|, s10
	v_sub_f32_e32 v6, v6, v7
	v_cndmask_b32_e32 v8, v9, v8, vcc
	v_mul_f32_e32 v6, 0.5, v6
	v_mul_f32_e32 v6, v8, v6
.LBB13_5:
	s_andn2_saveexec_b64 s[10:11], s[4:5]
	s_cbranch_execz .LBB13_7
; %bb.6:
	v_and_b32_e32 v6, 0x7fffffff, v2
	s_mov_b32 s12, 0x42000000
	v_div_scale_f32 v7, s[4:5], v6, v6, s12
	v_rcp_f32_e32 v8, v7
	v_div_scale_f32 v6, vcc, s12, v6, s12
	s_mov_b32 s4, 0x3fb8aa3b
	v_fma_f32 v9, -v7, v8, 1.0
	v_fmac_f32_e32 v8, v9, v8
	v_mul_f32_e32 v9, v6, v8
	v_fma_f32 v10, -v7, v9, v6
	v_fmac_f32_e32 v9, v10, v8
	v_fma_f32 v6, -v7, v9, v6
	v_div_fmas_f32 v6, v6, v8, v9
	v_div_fixup_f32 v6, v6, |v2|, s12
	v_add_f32_e32 v6, -2.0, v6
	v_mov_b32_e32 v7, 0xa2b236d3
	v_fmac_f32_e32 v7, 0xa3056dbb, v6
	v_mov_b32_e32 v8, 0x23056dbb
	v_fmac_f32_e32 v8, v6, v7
	v_add_f32_e32 v8, 0x244df0c1, v8
	v_fma_f32 v7, v6, v8, -v7
	v_add_f32_e32 v7, 0x241f9ee8, v7
	v_fma_f32 v8, v6, v7, -v8
	;; [unrolled: 2-line block ×17, first 2 shown]
	v_add_f32_e32 v7, 0x32c2b494, v7
	v_mul_f32_e64 v9, |v2|, s4
	v_fma_f32 v8, v6, v7, -v8
	v_rndne_f32_e32 v10, v9
	v_add_f32_e32 v8, 0x345c003f, v8
	v_sub_f32_e32 v11, v9, v10
	v_fma_f32 v9, |v2|, s4, -v9
	s_mov_b32 s4, 0x32a5705f
	v_fma_f32 v7, v6, v8, -v7
	v_fma_f32 v9, |v2|, s4, v9
	v_add_f32_e32 v7, 0x3642095e, v7
	v_add_f32_e32 v9, v11, v9
	v_fma_f32 v8, v6, v7, -v8
	v_exp_f32_e32 v9, v9
	v_cvt_i32_f32_e32 v10, v10
	v_add_f32_e32 v8, 0x38907d1c, v8
	v_fma_f32 v7, v6, v8, -v7
	v_add_f32_e32 v7, 0x3b5ccc65, v7
	s_mov_b32 s4, 0xc2ce8ed0
	v_fma_f32 v6, v6, v7, -v8
	v_ldexp_f32 v7, v9, v10
	v_cmp_nlt_f32_e64 vcc, |v2|, s4
	s_mov_b32 s4, 0x42b17218
	v_cndmask_b32_e32 v7, 0, v7, vcc
	v_mov_b32_e32 v9, 0x7f800000
	v_cmp_ngt_f32_e64 vcc, |v2|, s4
	s_mov_b32 s4, 0xf800000
	s_mov_b32 s5, 0x4f800000
	v_cndmask_b32_e32 v7, v9, v7, vcc
	v_mul_f32_e64 v9, |v2|, s5
	v_cmp_lt_f32_e64 vcc, |v2|, s4
	v_cndmask_b32_e64 v2, |v2|, v9, vcc
	v_sqrt_f32_e32 v9, v2
	v_add_f32_e32 v6, 0x3f4df315, v6
	v_sub_f32_e32 v6, v6, v8
	v_mul_f32_e32 v6, 0.5, v6
	v_mul_f32_e32 v6, v7, v6
	v_add_u32_e32 v7, -1, v9
	v_fma_f32 v8, -v7, v9, v2
	v_cmp_ge_f32_e64 s[4:5], 0, v8
	v_add_u32_e32 v8, 1, v9
	v_cndmask_b32_e64 v7, v9, v7, s[4:5]
	v_fma_f32 v9, -v8, v9, v2
	v_cmp_lt_f32_e64 s[4:5], 0, v9
	v_cndmask_b32_e64 v7, v7, v8, s[4:5]
	v_mul_f32_e32 v8, 0x37800000, v7
	v_cndmask_b32_e32 v7, v7, v8, vcc
	v_mov_b32_e32 v8, 0x260
	v_cmp_class_f32_e32 vcc, v2, v8
	v_cndmask_b32_e32 v2, v7, v2, vcc
	v_div_scale_f32 v7, s[4:5], v2, v2, v6
	v_rcp_f32_e32 v8, v7
	v_fma_f32 v9, -v7, v8, 1.0
	v_fmac_f32_e32 v8, v9, v8
	v_div_scale_f32 v9, vcc, v6, v2, v6
	v_mul_f32_e32 v10, v9, v8
	v_fma_f32 v11, -v7, v10, v9
	v_fmac_f32_e32 v10, v11, v8
	v_fma_f32 v7, -v7, v10, v9
	v_div_fmas_f32 v7, v7, v8, v10
	v_div_fixup_f32 v6, v7, v2, v6
.LBB13_7:
	s_or_b64 exec, exec, s[10:11]
	s_mov_b32 s4, 0x41000000
	v_cmp_le_f32_e64 s[4:5], |v3|, s4
	s_and_saveexec_b64 s[10:11], s[4:5]
	s_xor_b64 s[4:5], exec, s[10:11]
	s_cbranch_execz .LBB13_9
; %bb.8:
	v_fma_f32 v2, |v3|, 0.5, -2.0
	v_mov_b32_e32 v7, 0x24199b15
	v_fmac_f32_e32 v7, 0xa2a2e5b9, v2
	v_mov_b32_e32 v8, 0x22a2e5b9
	v_fmac_f32_e32 v8, v2, v7
	v_add_f32_e32 v8, 0xa58c275c, v8
	v_fma_f32 v7, v2, v8, -v7
	v_add_f32_e32 v7, 0x26f736c5, v7
	v_fma_f32 v8, v2, v7, -v8
	v_add_f32_e32 v8, 0xa8528116, v8
	v_fma_f32 v7, v2, v8, -v7
	v_add_f32_e32 v7, 0x29acda32, v7
	v_fma_f32 v8, v2, v7, -v8
	v_add_f32_e32 v8, 0xab08b263, v8
	v_fma_f32 v7, v2, v8, -v7
	v_add_f32_e32 v7, 0x2c4ff17f, v7
	v_fma_f32 v8, v2, v7, -v8
	v_add_f32_e32 v8, 0xad97e4ac, v8
	v_fma_f32 v7, v2, v8, -v7
	v_add_f32_e32 v7, 0x2ed4c5f6, v7
	v_fma_f32 v8, v2, v7, -v8
	v_add_f32_e32 v8, 0xb00ea7f1, v8
	v_fma_f32 v7, v2, v8, -v7
	v_add_f32_e32 v7, 0x3136c81d, v7
	v_fma_f32 v8, v2, v7, -v8
	v_add_f32_e32 v8, 0xb25f57b4, v8
	v_fma_f32 v7, v2, v8, -v7
	v_add_f32_e32 v7, 0x3381dbb5, v7
	v_fma_f32 v8, v2, v7, -v8
	v_add_f32_e32 v8, 0xb48f631c, v8
	v_fma_f32 v7, v2, v8, -v7
	v_add_f32_e32 v7, 0x3595f925, v7
	v_fma_f32 v8, v2, v7, -v8
	v_add_f32_e32 v8, 0xb694337e, v8
	v_fma_f32 v7, v2, v8, -v7
	v_add_f32_e32 v7, 0x3789fac6, v7
	v_fma_f32 v8, v2, v7, -v8
	v_add_f32_e32 v8, 0xb8715933, v8
	v_fma_f32 v7, v2, v8, -v7
	v_add_f32_e32 v7, 0x3945a8dc, v7
	v_fma_f32 v8, v2, v7, -v8
	v_add_f32_e32 v8, 0xba1717e9, v8
	v_fma_f32 v7, v2, v8, -v7
	v_add_f32_e32 v7, 0x3ad6e3ac, v7
	v_fma_f32 v8, v2, v7, -v8
	v_add_f32_e32 v8, 0xbb8db2f1, v8
	v_fma_f32 v7, v2, v8, -v7
	v_add_f32_e32 v7, 0x3c2ccb10, v7
	v_fma_f32 v8, v2, v7, -v8
	v_add_f32_e32 v8, 0xbcc274f8, v8
	s_mov_b32 s10, 0x3fb8aa3b
	v_fma_f32 v7, v2, v8, -v7
	v_mul_f32_e64 v9, |v3|, s10
	v_add_f32_e32 v7, 0x3d49f456, v7
	v_rndne_f32_e32 v10, v9
	v_fma_f32 v8, v2, v7, -v8
	v_sub_f32_e32 v11, v9, v10
	v_fma_f32 v9, |v3|, s10, -v9
	s_mov_b32 s10, 0x32a5705f
	v_add_f32_e32 v8, 0xbdc25b82, v8
	v_fma_f32 v9, |v3|, s10, v9
	v_fma_f32 v7, v2, v8, -v7
	v_add_f32_e32 v9, v11, v9
	v_add_f32_e32 v7, 0x3e2fbd64, v7
	v_exp_f32_e32 v9, v9
	v_cvt_i32_f32_e32 v10, v10
	v_fma_f32 v8, v2, v7, -v8
	v_add_f32_e32 v8, 0xbe9bff5e, v8
	v_fma_f32 v2, v2, v8, -v7
	s_mov_b32 s10, 0xc2ce8ed0
	v_add_f32_e32 v2, 0x3f2d4275, v2
	v_ldexp_f32 v8, v9, v10
	v_cmp_nlt_f32_e64 vcc, |v3|, s10
	s_mov_b32 s10, 0x42b17218
	v_cndmask_b32_e32 v8, 0, v8, vcc
	v_mov_b32_e32 v9, 0x7f800000
	v_cmp_ngt_f32_e64 vcc, |v3|, s10
	v_sub_f32_e32 v2, v2, v7
	v_cndmask_b32_e32 v8, v9, v8, vcc
	v_mul_f32_e32 v2, 0.5, v2
	v_mul_f32_e32 v7, v8, v2
.LBB13_9:
	s_andn2_saveexec_b64 s[10:11], s[4:5]
	s_cbranch_execz .LBB13_11
; %bb.10:
	v_and_b32_e32 v2, 0x7fffffff, v3
	s_mov_b32 s12, 0x42000000
	v_div_scale_f32 v7, s[4:5], v2, v2, s12
	v_rcp_f32_e32 v8, v7
	v_div_scale_f32 v2, vcc, s12, v2, s12
	s_mov_b32 s4, 0x3fb8aa3b
	v_fma_f32 v9, -v7, v8, 1.0
	v_fmac_f32_e32 v8, v9, v8
	v_mul_f32_e32 v9, v2, v8
	v_fma_f32 v10, -v7, v9, v2
	v_fmac_f32_e32 v9, v10, v8
	v_fma_f32 v2, -v7, v9, v2
	v_div_fmas_f32 v2, v2, v8, v9
	v_div_fixup_f32 v2, v2, |v3|, s12
	v_add_f32_e32 v2, -2.0, v2
	v_mov_b32_e32 v7, 0xa2b236d3
	v_fmac_f32_e32 v7, 0xa3056dbb, v2
	v_mov_b32_e32 v8, 0x23056dbb
	v_fmac_f32_e32 v8, v2, v7
	v_add_f32_e32 v8, 0x244df0c1, v8
	v_fma_f32 v7, v2, v8, -v7
	v_add_f32_e32 v7, 0x241f9ee8, v7
	v_fma_f32 v8, v2, v7, -v8
	;; [unrolled: 2-line block ×17, first 2 shown]
	v_add_f32_e32 v7, 0x32c2b494, v7
	v_mul_f32_e64 v9, |v3|, s4
	v_fma_f32 v8, v2, v7, -v8
	v_rndne_f32_e32 v10, v9
	v_add_f32_e32 v8, 0x345c003f, v8
	v_sub_f32_e32 v11, v9, v10
	v_fma_f32 v9, |v3|, s4, -v9
	s_mov_b32 s4, 0x32a5705f
	v_fma_f32 v7, v2, v8, -v7
	v_fma_f32 v9, |v3|, s4, v9
	v_add_f32_e32 v7, 0x3642095e, v7
	v_add_f32_e32 v9, v11, v9
	v_fma_f32 v8, v2, v7, -v8
	v_exp_f32_e32 v9, v9
	v_cvt_i32_f32_e32 v10, v10
	v_add_f32_e32 v8, 0x38907d1c, v8
	v_fma_f32 v7, v2, v8, -v7
	v_add_f32_e32 v7, 0x3b5ccc65, v7
	s_mov_b32 s4, 0xc2ce8ed0
	v_fma_f32 v2, v2, v7, -v8
	v_ldexp_f32 v7, v9, v10
	v_cmp_nlt_f32_e64 vcc, |v3|, s4
	s_mov_b32 s4, 0x42b17218
	v_cndmask_b32_e32 v7, 0, v7, vcc
	v_mov_b32_e32 v9, 0x7f800000
	v_cmp_ngt_f32_e64 vcc, |v3|, s4
	s_mov_b32 s4, 0xf800000
	s_mov_b32 s5, 0x4f800000
	v_cndmask_b32_e32 v7, v9, v7, vcc
	v_mul_f32_e64 v9, |v3|, s5
	v_cmp_lt_f32_e64 vcc, |v3|, s4
	v_cndmask_b32_e64 v3, |v3|, v9, vcc
	v_sqrt_f32_e32 v9, v3
	v_add_f32_e32 v2, 0x3f4df315, v2
	v_sub_f32_e32 v2, v2, v8
	v_mul_f32_e32 v2, 0.5, v2
	v_mul_f32_e32 v2, v7, v2
	v_add_u32_e32 v7, -1, v9
	v_fma_f32 v8, -v7, v9, v3
	v_cmp_ge_f32_e64 s[4:5], 0, v8
	v_add_u32_e32 v8, 1, v9
	v_cndmask_b32_e64 v7, v9, v7, s[4:5]
	v_fma_f32 v9, -v8, v9, v3
	v_cmp_lt_f32_e64 s[4:5], 0, v9
	v_cndmask_b32_e64 v7, v7, v8, s[4:5]
	v_mul_f32_e32 v8, 0x37800000, v7
	v_cndmask_b32_e32 v7, v7, v8, vcc
	v_mov_b32_e32 v8, 0x260
	v_cmp_class_f32_e32 vcc, v3, v8
	v_cndmask_b32_e32 v3, v7, v3, vcc
	v_div_scale_f32 v7, s[4:5], v3, v3, v2
	v_rcp_f32_e32 v8, v7
	v_fma_f32 v9, -v7, v8, 1.0
	v_fmac_f32_e32 v8, v9, v8
	v_div_scale_f32 v9, vcc, v2, v3, v2
	v_mul_f32_e32 v10, v9, v8
	v_fma_f32 v11, -v7, v10, v9
	v_fmac_f32_e32 v10, v11, v8
	v_fma_f32 v7, -v7, v10, v9
	v_div_fmas_f32 v7, v7, v8, v10
	v_div_fixup_f32 v7, v7, v3, v2
.LBB13_11:
	s_or_b64 exec, exec, s[10:11]
	s_mov_b32 s4, 0x41000000
	v_cmp_le_f32_e64 s[4:5], |v4|, s4
	s_and_saveexec_b64 s[10:11], s[4:5]
	s_xor_b64 s[4:5], exec, s[10:11]
	s_cbranch_execz .LBB13_13
; %bb.12:
	v_fma_f32 v2, |v4|, 0.5, -2.0
	v_mov_b32_e32 v3, 0x24199b15
	v_fmac_f32_e32 v3, 0xa2a2e5b9, v2
	v_mov_b32_e32 v8, 0x22a2e5b9
	v_fmac_f32_e32 v8, v2, v3
	v_add_f32_e32 v8, 0xa58c275c, v8
	v_fma_f32 v3, v2, v8, -v3
	v_add_f32_e32 v3, 0x26f736c5, v3
	v_fma_f32 v8, v2, v3, -v8
	;; [unrolled: 2-line block ×22, first 2 shown]
	v_add_f32_e32 v8, 0xbcc274f8, v8
	s_mov_b32 s10, 0x3fb8aa3b
	v_fma_f32 v3, v2, v8, -v3
	v_mul_f32_e64 v9, |v4|, s10
	v_add_f32_e32 v3, 0x3d49f456, v3
	v_rndne_f32_e32 v10, v9
	v_fma_f32 v8, v2, v3, -v8
	v_sub_f32_e32 v11, v9, v10
	v_fma_f32 v9, |v4|, s10, -v9
	s_mov_b32 s10, 0x32a5705f
	v_add_f32_e32 v8, 0xbdc25b82, v8
	v_fma_f32 v9, |v4|, s10, v9
	v_fma_f32 v3, v2, v8, -v3
	v_add_f32_e32 v9, v11, v9
	v_add_f32_e32 v3, 0x3e2fbd64, v3
	v_exp_f32_e32 v9, v9
	v_cvt_i32_f32_e32 v10, v10
	v_fma_f32 v8, v2, v3, -v8
	v_add_f32_e32 v8, 0xbe9bff5e, v8
	v_fma_f32 v2, v2, v8, -v3
	s_mov_b32 s10, 0xc2ce8ed0
	v_add_f32_e32 v2, 0x3f2d4275, v2
	v_ldexp_f32 v8, v9, v10
	v_cmp_nlt_f32_e64 vcc, |v4|, s10
	s_mov_b32 s10, 0x42b17218
	v_cndmask_b32_e32 v8, 0, v8, vcc
	v_mov_b32_e32 v9, 0x7f800000
	v_cmp_ngt_f32_e64 vcc, |v4|, s10
	v_sub_f32_e32 v2, v2, v3
	v_cndmask_b32_e32 v8, v9, v8, vcc
	v_mul_f32_e32 v2, 0.5, v2
	v_mul_f32_e32 v8, v8, v2
.LBB13_13:
	s_andn2_saveexec_b64 s[10:11], s[4:5]
	s_cbranch_execz .LBB13_15
; %bb.14:
	v_and_b32_e32 v2, 0x7fffffff, v4
	s_mov_b32 s12, 0x42000000
	v_div_scale_f32 v3, s[4:5], v2, v2, s12
	v_rcp_f32_e32 v8, v3
	v_div_scale_f32 v2, vcc, s12, v2, s12
	s_mov_b32 s4, 0x3fb8aa3b
	v_fma_f32 v9, -v3, v8, 1.0
	v_fmac_f32_e32 v8, v9, v8
	v_mul_f32_e32 v9, v2, v8
	v_fma_f32 v10, -v3, v9, v2
	v_fmac_f32_e32 v9, v10, v8
	v_fma_f32 v2, -v3, v9, v2
	v_div_fmas_f32 v2, v2, v8, v9
	v_div_fixup_f32 v2, v2, |v4|, s12
	v_add_f32_e32 v2, -2.0, v2
	v_mov_b32_e32 v3, 0xa2b236d3
	v_fmac_f32_e32 v3, 0xa3056dbb, v2
	v_mov_b32_e32 v8, 0x23056dbb
	v_fmac_f32_e32 v8, v2, v3
	v_add_f32_e32 v8, 0x244df0c1, v8
	v_fma_f32 v3, v2, v8, -v3
	v_add_f32_e32 v3, 0x241f9ee8, v3
	v_fma_f32 v8, v2, v3, -v8
	;; [unrolled: 2-line block ×17, first 2 shown]
	v_add_f32_e32 v3, 0x32c2b494, v3
	v_mul_f32_e64 v9, |v4|, s4
	v_fma_f32 v8, v2, v3, -v8
	v_rndne_f32_e32 v10, v9
	v_add_f32_e32 v8, 0x345c003f, v8
	v_sub_f32_e32 v11, v9, v10
	v_fma_f32 v9, |v4|, s4, -v9
	s_mov_b32 s4, 0x32a5705f
	v_fma_f32 v3, v2, v8, -v3
	v_fma_f32 v9, |v4|, s4, v9
	v_add_f32_e32 v3, 0x3642095e, v3
	v_add_f32_e32 v9, v11, v9
	v_fma_f32 v8, v2, v3, -v8
	v_exp_f32_e32 v9, v9
	v_cvt_i32_f32_e32 v10, v10
	v_add_f32_e32 v8, 0x38907d1c, v8
	v_fma_f32 v3, v2, v8, -v3
	v_add_f32_e32 v3, 0x3b5ccc65, v3
	s_mov_b32 s4, 0xc2ce8ed0
	v_fma_f32 v2, v2, v3, -v8
	v_ldexp_f32 v3, v9, v10
	v_cmp_nlt_f32_e64 vcc, |v4|, s4
	s_mov_b32 s4, 0x42b17218
	v_cndmask_b32_e32 v3, 0, v3, vcc
	v_mov_b32_e32 v9, 0x7f800000
	v_cmp_ngt_f32_e64 vcc, |v4|, s4
	s_mov_b32 s4, 0xf800000
	s_mov_b32 s5, 0x4f800000
	v_cndmask_b32_e32 v3, v9, v3, vcc
	v_mul_f32_e64 v9, |v4|, s5
	v_cmp_lt_f32_e64 vcc, |v4|, s4
	v_cndmask_b32_e64 v4, |v4|, v9, vcc
	v_sqrt_f32_e32 v9, v4
	v_add_f32_e32 v2, 0x3f4df315, v2
	v_sub_f32_e32 v2, v2, v8
	v_mul_f32_e32 v2, 0.5, v2
	v_mul_f32_e32 v2, v3, v2
	v_add_u32_e32 v3, -1, v9
	v_fma_f32 v8, -v3, v9, v4
	v_cmp_ge_f32_e64 s[4:5], 0, v8
	v_add_u32_e32 v8, 1, v9
	v_cndmask_b32_e64 v3, v9, v3, s[4:5]
	v_fma_f32 v9, -v8, v9, v4
	v_cmp_lt_f32_e64 s[4:5], 0, v9
	v_cndmask_b32_e64 v3, v3, v8, s[4:5]
	v_mul_f32_e32 v8, 0x37800000, v3
	v_cndmask_b32_e32 v3, v3, v8, vcc
	v_mov_b32_e32 v8, 0x260
	v_cmp_class_f32_e32 vcc, v4, v8
	v_cndmask_b32_e32 v3, v3, v4, vcc
	v_div_scale_f32 v4, s[4:5], v3, v3, v2
	v_rcp_f32_e32 v8, v4
	v_fma_f32 v9, -v4, v8, 1.0
	v_fmac_f32_e32 v8, v9, v8
	v_div_scale_f32 v9, vcc, v2, v3, v2
	v_mul_f32_e32 v10, v9, v8
	v_fma_f32 v11, -v4, v10, v9
	v_fmac_f32_e32 v10, v11, v8
	v_fma_f32 v4, -v4, v10, v9
	v_div_fmas_f32 v4, v4, v8, v10
	v_div_fixup_f32 v8, v4, v3, v2
.LBB13_15:
	s_or_b64 exec, exec, s[10:11]
	s_mov_b32 s4, 0x41000000
	v_cmp_le_f32_e64 s[4:5], |v5|, s4
	s_and_saveexec_b64 s[10:11], s[4:5]
	s_xor_b64 s[4:5], exec, s[10:11]
	s_cbranch_execz .LBB13_17
; %bb.16:
	v_fma_f32 v2, |v5|, 0.5, -2.0
	v_mov_b32_e32 v3, 0x24199b15
	v_fmac_f32_e32 v3, 0xa2a2e5b9, v2
	v_mov_b32_e32 v4, 0x22a2e5b9
	v_fmac_f32_e32 v4, v2, v3
	v_add_f32_e32 v4, 0xa58c275c, v4
	v_fma_f32 v3, v2, v4, -v3
	v_add_f32_e32 v3, 0x26f736c5, v3
	v_fma_f32 v4, v2, v3, -v4
	;; [unrolled: 2-line block ×22, first 2 shown]
	v_add_f32_e32 v4, 0xbcc274f8, v4
	s_mov_b32 s10, 0x3fb8aa3b
	v_fma_f32 v3, v2, v4, -v3
	v_mul_f32_e64 v9, |v5|, s10
	v_add_f32_e32 v3, 0x3d49f456, v3
	v_rndne_f32_e32 v10, v9
	v_fma_f32 v4, v2, v3, -v4
	v_sub_f32_e32 v11, v9, v10
	v_fma_f32 v9, |v5|, s10, -v9
	s_mov_b32 s10, 0x32a5705f
	v_add_f32_e32 v4, 0xbdc25b82, v4
	v_fma_f32 v9, |v5|, s10, v9
	v_fma_f32 v3, v2, v4, -v3
	v_add_f32_e32 v9, v11, v9
	v_add_f32_e32 v3, 0x3e2fbd64, v3
	v_exp_f32_e32 v9, v9
	v_cvt_i32_f32_e32 v10, v10
	v_fma_f32 v4, v2, v3, -v4
	v_add_f32_e32 v4, 0xbe9bff5e, v4
	v_fma_f32 v2, v2, v4, -v3
	s_mov_b32 s10, 0xc2ce8ed0
	v_add_f32_e32 v2, 0x3f2d4275, v2
	v_ldexp_f32 v4, v9, v10
	v_cmp_nlt_f32_e64 vcc, |v5|, s10
	s_mov_b32 s10, 0x42b17218
	v_cndmask_b32_e32 v4, 0, v4, vcc
	v_mov_b32_e32 v9, 0x7f800000
	v_cmp_ngt_f32_e64 vcc, |v5|, s10
	v_sub_f32_e32 v2, v2, v3
	v_cndmask_b32_e32 v4, v9, v4, vcc
	v_mul_f32_e32 v2, 0.5, v2
	v_mul_f32_e32 v9, v4, v2
                                        ; implicit-def: $vgpr2_vgpr3_vgpr4_vgpr5
.LBB13_17:
	s_andn2_saveexec_b64 s[10:11], s[4:5]
	s_cbranch_execz .LBB13_19
; %bb.18:
	v_and_b32_e32 v2, 0x7fffffff, v5
	s_mov_b32 s12, 0x42000000
	v_div_scale_f32 v3, s[4:5], v2, v2, s12
	v_rcp_f32_e32 v4, v3
	v_div_scale_f32 v2, vcc, s12, v2, s12
	s_mov_b32 s4, 0x3fb8aa3b
	v_fma_f32 v9, -v3, v4, 1.0
	v_fmac_f32_e32 v4, v9, v4
	v_mul_f32_e32 v9, v2, v4
	v_fma_f32 v10, -v3, v9, v2
	v_fmac_f32_e32 v9, v10, v4
	v_fma_f32 v2, -v3, v9, v2
	v_div_fmas_f32 v2, v2, v4, v9
	v_div_fixup_f32 v2, v2, |v5|, s12
	v_add_f32_e32 v2, -2.0, v2
	v_mov_b32_e32 v3, 0xa2b236d3
	v_fmac_f32_e32 v3, 0xa3056dbb, v2
	v_mov_b32_e32 v4, 0x23056dbb
	v_fmac_f32_e32 v4, v2, v3
	v_add_f32_e32 v4, 0x244df0c1, v4
	v_fma_f32 v3, v2, v4, -v3
	v_add_f32_e32 v3, 0x241f9ee8, v3
	v_fma_f32 v4, v2, v3, -v4
	;; [unrolled: 2-line block ×17, first 2 shown]
	v_add_f32_e32 v3, 0x32c2b494, v3
	v_mul_f32_e64 v9, |v5|, s4
	v_fma_f32 v4, v2, v3, -v4
	v_rndne_f32_e32 v10, v9
	v_add_f32_e32 v4, 0x345c003f, v4
	v_sub_f32_e32 v11, v9, v10
	v_fma_f32 v9, |v5|, s4, -v9
	s_mov_b32 s4, 0x32a5705f
	v_fma_f32 v3, v2, v4, -v3
	v_fma_f32 v9, |v5|, s4, v9
	v_add_f32_e32 v3, 0x3642095e, v3
	v_add_f32_e32 v9, v11, v9
	v_fma_f32 v4, v2, v3, -v4
	v_exp_f32_e32 v9, v9
	v_cvt_i32_f32_e32 v10, v10
	v_add_f32_e32 v4, 0x38907d1c, v4
	v_fma_f32 v3, v2, v4, -v3
	v_add_f32_e32 v3, 0x3b5ccc65, v3
	s_mov_b32 s4, 0xc2ce8ed0
	v_fma_f32 v2, v2, v3, -v4
	v_ldexp_f32 v3, v9, v10
	v_cmp_nlt_f32_e64 vcc, |v5|, s4
	s_mov_b32 s4, 0x42b17218
	v_cndmask_b32_e32 v3, 0, v3, vcc
	v_mov_b32_e32 v9, 0x7f800000
	v_cmp_ngt_f32_e64 vcc, |v5|, s4
	s_mov_b32 s4, 0xf800000
	s_mov_b32 s5, 0x4f800000
	v_cndmask_b32_e32 v3, v9, v3, vcc
	v_mul_f32_e64 v9, |v5|, s5
	v_cmp_lt_f32_e64 vcc, |v5|, s4
	v_cndmask_b32_e64 v5, |v5|, v9, vcc
	v_sqrt_f32_e32 v9, v5
	v_add_f32_e32 v2, 0x3f4df315, v2
	v_sub_f32_e32 v2, v2, v4
	v_mul_f32_e32 v2, 0.5, v2
	v_mul_f32_e32 v2, v3, v2
	v_add_u32_e32 v3, -1, v9
	v_fma_f32 v4, -v3, v9, v5
	v_cmp_ge_f32_e64 s[4:5], 0, v4
	v_add_u32_e32 v4, 1, v9
	v_cndmask_b32_e64 v3, v9, v3, s[4:5]
	v_fma_f32 v9, -v4, v9, v5
	v_cmp_lt_f32_e64 s[4:5], 0, v9
	v_cndmask_b32_e64 v3, v3, v4, s[4:5]
	v_mul_f32_e32 v4, 0x37800000, v3
	v_cndmask_b32_e32 v3, v3, v4, vcc
	v_mov_b32_e32 v4, 0x260
	v_cmp_class_f32_e32 vcc, v5, v4
	v_cndmask_b32_e32 v3, v3, v5, vcc
	v_div_scale_f32 v4, s[4:5], v3, v3, v2
	v_rcp_f32_e32 v5, v4
	v_fma_f32 v9, -v4, v5, 1.0
	v_fmac_f32_e32 v5, v9, v5
	v_div_scale_f32 v9, vcc, v2, v3, v2
	v_mul_f32_e32 v10, v9, v5
	v_fma_f32 v11, -v4, v10, v9
	v_fmac_f32_e32 v10, v11, v5
	v_fma_f32 v4, -v4, v10, v9
	v_div_fmas_f32 v4, v4, v5, v10
	v_div_fixup_f32 v9, v4, v3, v2
.LBB13_19:
	s_or_b64 exec, exec, s[10:11]
	s_add_u32 s4, s16, s6
	s_addc_u32 s5, s17, s7
	global_store_dwordx4 v1, v[6:9], s[4:5]
	s_branch .LBB13_2
.LBB13_20:
	s_mov_b32 s12, s8
	v_mov_b32_e32 v31, v0
	v_mov_b32_e32 v0, s16
	v_mov_b32_e32 v1, s17
	v_mov_b32_e32 v2, s18
	v_mov_b32_e32 v3, s19
	v_mov_b32_e32 v4, s9
	s_getpc_b64 s[4:5]
	s_add_u32 s4, s4, _ZN2at6native25elementwise_kernel_helperILb0EZZZNS0_12_GLOBAL__N_130modified_bessel_i0_kernel_cudaERNS_18TensorIteratorBaseEENKUlvE_clEvENKUlvE0_clEvEUlfE_NS0_6memory8policies11unroll_baseILi256ESt5arrayIPcLm2EE23TrivialOffsetCalculatorILi1EjESF_NS8_15LoadWithoutCastENS8_16StoreWithoutCastELi4ELi1EEEEEvT0_T1_@rel32@lo+4
	s_addc_u32 s5, s5, _ZN2at6native25elementwise_kernel_helperILb0EZZZNS0_12_GLOBAL__N_130modified_bessel_i0_kernel_cudaERNS_18TensorIteratorBaseEENKUlvE_clEvENKUlvE0_clEvEUlfE_NS0_6memory8policies11unroll_baseILi256ESt5arrayIPcLm2EE23TrivialOffsetCalculatorILi1EjESF_NS8_15LoadWithoutCastENS8_16StoreWithoutCastELi4ELi1EEEEEvT0_T1_@rel32@hi+12
	s_swappc_b64 s[30:31], s[4:5]
	s_endpgm
	.section	.rodata,"a",@progbits
	.p2align	6, 0x0
	.amdhsa_kernel _ZN2at6native29vectorized_elementwise_kernelILi4EZZZNS0_12_GLOBAL__N_130modified_bessel_i0_kernel_cudaERNS_18TensorIteratorBaseEENKUlvE_clEvENKUlvE0_clEvEUlfE_St5arrayIPcLm2EEEEviT0_T1_
		.amdhsa_group_segment_fixed_size 0
		.amdhsa_private_segment_fixed_size 0
		.amdhsa_kernarg_size 24
		.amdhsa_user_sgpr_count 8
		.amdhsa_user_sgpr_private_segment_buffer 1
		.amdhsa_user_sgpr_dispatch_ptr 0
		.amdhsa_user_sgpr_queue_ptr 0
		.amdhsa_user_sgpr_kernarg_segment_ptr 1
		.amdhsa_user_sgpr_dispatch_id 0
		.amdhsa_user_sgpr_flat_scratch_init 1
		.amdhsa_user_sgpr_kernarg_preload_length 0
		.amdhsa_user_sgpr_kernarg_preload_offset 0
		.amdhsa_user_sgpr_private_segment_size 0
		.amdhsa_uses_dynamic_stack 0
		.amdhsa_system_sgpr_private_segment_wavefront_offset 0
		.amdhsa_system_sgpr_workgroup_id_x 1
		.amdhsa_system_sgpr_workgroup_id_y 0
		.amdhsa_system_sgpr_workgroup_id_z 0
		.amdhsa_system_sgpr_workgroup_info 0
		.amdhsa_system_vgpr_workitem_id 0
		.amdhsa_next_free_vgpr 32
		.amdhsa_next_free_sgpr 33
		.amdhsa_accum_offset 32
		.amdhsa_reserve_vcc 1
		.amdhsa_reserve_flat_scratch 1
		.amdhsa_float_round_mode_32 0
		.amdhsa_float_round_mode_16_64 0
		.amdhsa_float_denorm_mode_32 3
		.amdhsa_float_denorm_mode_16_64 3
		.amdhsa_dx10_clamp 1
		.amdhsa_ieee_mode 1
		.amdhsa_fp16_overflow 0
		.amdhsa_tg_split 0
		.amdhsa_exception_fp_ieee_invalid_op 0
		.amdhsa_exception_fp_denorm_src 0
		.amdhsa_exception_fp_ieee_div_zero 0
		.amdhsa_exception_fp_ieee_overflow 0
		.amdhsa_exception_fp_ieee_underflow 0
		.amdhsa_exception_fp_ieee_inexact 0
		.amdhsa_exception_int_div_zero 0
	.end_amdhsa_kernel
	.section	.text._ZN2at6native29vectorized_elementwise_kernelILi4EZZZNS0_12_GLOBAL__N_130modified_bessel_i0_kernel_cudaERNS_18TensorIteratorBaseEENKUlvE_clEvENKUlvE0_clEvEUlfE_St5arrayIPcLm2EEEEviT0_T1_,"axG",@progbits,_ZN2at6native29vectorized_elementwise_kernelILi4EZZZNS0_12_GLOBAL__N_130modified_bessel_i0_kernel_cudaERNS_18TensorIteratorBaseEENKUlvE_clEvENKUlvE0_clEvEUlfE_St5arrayIPcLm2EEEEviT0_T1_,comdat
.Lfunc_end13:
	.size	_ZN2at6native29vectorized_elementwise_kernelILi4EZZZNS0_12_GLOBAL__N_130modified_bessel_i0_kernel_cudaERNS_18TensorIteratorBaseEENKUlvE_clEvENKUlvE0_clEvEUlfE_St5arrayIPcLm2EEEEviT0_T1_, .Lfunc_end13-_ZN2at6native29vectorized_elementwise_kernelILi4EZZZNS0_12_GLOBAL__N_130modified_bessel_i0_kernel_cudaERNS_18TensorIteratorBaseEENKUlvE_clEvENKUlvE0_clEvEUlfE_St5arrayIPcLm2EEEEviT0_T1_
                                        ; -- End function
	.section	.AMDGPU.csdata,"",@progbits
; Kernel info:
; codeLenInByte = 5988
; NumSgprs: 39
; NumVgprs: 32
; NumAgprs: 0
; TotalNumVgprs: 32
; ScratchSize: 0
; MemoryBound: 0
; FloatMode: 240
; IeeeMode: 1
; LDSByteSize: 0 bytes/workgroup (compile time only)
; SGPRBlocks: 4
; VGPRBlocks: 3
; NumSGPRsForWavesPerEU: 39
; NumVGPRsForWavesPerEU: 32
; AccumOffset: 32
; Occupancy: 8
; WaveLimiterHint : 0
; COMPUTE_PGM_RSRC2:SCRATCH_EN: 0
; COMPUTE_PGM_RSRC2:USER_SGPR: 8
; COMPUTE_PGM_RSRC2:TRAP_HANDLER: 0
; COMPUTE_PGM_RSRC2:TGID_X_EN: 1
; COMPUTE_PGM_RSRC2:TGID_Y_EN: 0
; COMPUTE_PGM_RSRC2:TGID_Z_EN: 0
; COMPUTE_PGM_RSRC2:TIDIG_COMP_CNT: 0
; COMPUTE_PGM_RSRC3_GFX90A:ACCUM_OFFSET: 7
; COMPUTE_PGM_RSRC3_GFX90A:TG_SPLIT: 0
	.section	.text._ZN2at6native29vectorized_elementwise_kernelILi2EZZZNS0_12_GLOBAL__N_130modified_bessel_i0_kernel_cudaERNS_18TensorIteratorBaseEENKUlvE_clEvENKUlvE0_clEvEUlfE_St5arrayIPcLm2EEEEviT0_T1_,"axG",@progbits,_ZN2at6native29vectorized_elementwise_kernelILi2EZZZNS0_12_GLOBAL__N_130modified_bessel_i0_kernel_cudaERNS_18TensorIteratorBaseEENKUlvE_clEvENKUlvE0_clEvEUlfE_St5arrayIPcLm2EEEEviT0_T1_,comdat
	.globl	_ZN2at6native29vectorized_elementwise_kernelILi2EZZZNS0_12_GLOBAL__N_130modified_bessel_i0_kernel_cudaERNS_18TensorIteratorBaseEENKUlvE_clEvENKUlvE0_clEvEUlfE_St5arrayIPcLm2EEEEviT0_T1_ ; -- Begin function _ZN2at6native29vectorized_elementwise_kernelILi2EZZZNS0_12_GLOBAL__N_130modified_bessel_i0_kernel_cudaERNS_18TensorIteratorBaseEENKUlvE_clEvENKUlvE0_clEvEUlfE_St5arrayIPcLm2EEEEviT0_T1_
	.p2align	8
	.type	_ZN2at6native29vectorized_elementwise_kernelILi2EZZZNS0_12_GLOBAL__N_130modified_bessel_i0_kernel_cudaERNS_18TensorIteratorBaseEENKUlvE_clEvENKUlvE0_clEvEUlfE_St5arrayIPcLm2EEEEviT0_T1_,@function
_ZN2at6native29vectorized_elementwise_kernelILi2EZZZNS0_12_GLOBAL__N_130modified_bessel_i0_kernel_cudaERNS_18TensorIteratorBaseEENKUlvE_clEvENKUlvE0_clEvEUlfE_St5arrayIPcLm2EEEEviT0_T1_: ; @_ZN2at6native29vectorized_elementwise_kernelILi2EZZZNS0_12_GLOBAL__N_130modified_bessel_i0_kernel_cudaERNS_18TensorIteratorBaseEENKUlvE_clEvENKUlvE0_clEvEUlfE_St5arrayIPcLm2EEEEviT0_T1_
; %bb.0:
	s_add_u32 flat_scratch_lo, s6, s9
	s_load_dword s6, s[4:5], 0x0
	s_load_dwordx4 s[16:19], s[4:5], 0x8
	s_addc_u32 flat_scratch_hi, s7, 0
	s_add_u32 s0, s0, s9
	s_addc_u32 s1, s1, 0
	s_lshl_b32 s4, s8, 10
	s_waitcnt lgkmcnt(0)
	s_sub_i32 s9, s6, s4
	s_cmpk_gt_i32 s9, 0x3ff
	s_mov_b64 s[6:7], -1
	s_mov_b32 s32, 0
	s_cbranch_scc1 .LBB14_3
; %bb.1:
	s_and_b64 vcc, exec, s[6:7]
	s_cbranch_vccnz .LBB14_20
.LBB14_2:
	s_endpgm
.LBB14_3:
	s_ashr_i32 s5, s4, 31
	s_lshl_b64 s[6:7], s[4:5], 2
	s_add_u32 s4, s18, s6
	s_addc_u32 s5, s19, s7
	v_lshlrev_b32_e32 v1, 3, v0
	global_load_dwordx2 v[6:7], v1, s[4:5]
	global_load_dwordx2 v[2:3], v1, s[4:5] offset:2048
	s_mov_b32 s4, 0x41000000
                                        ; implicit-def: $vgpr4
	s_waitcnt vmcnt(1)
	v_cmp_le_f32_e64 s[4:5], |v6|, s4
	s_and_saveexec_b64 s[10:11], s[4:5]
	s_xor_b64 s[4:5], exec, s[10:11]
	s_cbranch_execz .LBB14_5
; %bb.4:
	v_fma_f32 v4, |v6|, 0.5, -2.0
	v_mov_b32_e32 v5, 0x24199b15
	v_fmac_f32_e32 v5, 0xa2a2e5b9, v4
	v_mov_b32_e32 v8, 0x22a2e5b9
	v_fmac_f32_e32 v8, v4, v5
	v_add_f32_e32 v8, 0xa58c275c, v8
	v_fma_f32 v5, v4, v8, -v5
	v_add_f32_e32 v5, 0x26f736c5, v5
	v_fma_f32 v8, v4, v5, -v8
	;; [unrolled: 2-line block ×22, first 2 shown]
	v_add_f32_e32 v8, 0xbcc274f8, v8
	s_mov_b32 s10, 0x3fb8aa3b
	v_fma_f32 v5, v4, v8, -v5
	v_mul_f32_e64 v9, |v6|, s10
	v_add_f32_e32 v5, 0x3d49f456, v5
	v_rndne_f32_e32 v10, v9
	v_fma_f32 v8, v4, v5, -v8
	v_sub_f32_e32 v11, v9, v10
	v_fma_f32 v9, |v6|, s10, -v9
	s_mov_b32 s10, 0x32a5705f
	v_add_f32_e32 v8, 0xbdc25b82, v8
	v_fma_f32 v9, |v6|, s10, v9
	v_fma_f32 v5, v4, v8, -v5
	v_add_f32_e32 v9, v11, v9
	v_add_f32_e32 v5, 0x3e2fbd64, v5
	v_exp_f32_e32 v9, v9
	v_cvt_i32_f32_e32 v10, v10
	v_fma_f32 v8, v4, v5, -v8
	v_add_f32_e32 v8, 0xbe9bff5e, v8
	v_fma_f32 v4, v4, v8, -v5
	s_mov_b32 s10, 0xc2ce8ed0
	v_add_f32_e32 v4, 0x3f2d4275, v4
	v_ldexp_f32 v8, v9, v10
	v_cmp_nlt_f32_e64 vcc, |v6|, s10
	s_mov_b32 s10, 0x42b17218
	v_cndmask_b32_e32 v8, 0, v8, vcc
	v_mov_b32_e32 v9, 0x7f800000
	v_cmp_ngt_f32_e64 vcc, |v6|, s10
	v_sub_f32_e32 v4, v4, v5
	v_cndmask_b32_e32 v8, v9, v8, vcc
	v_mul_f32_e32 v4, 0.5, v4
	v_mul_f32_e32 v4, v8, v4
.LBB14_5:
	s_andn2_saveexec_b64 s[10:11], s[4:5]
	s_cbranch_execz .LBB14_7
; %bb.6:
	v_and_b32_e32 v4, 0x7fffffff, v6
	s_mov_b32 s12, 0x42000000
	v_div_scale_f32 v5, s[4:5], v4, v4, s12
	v_rcp_f32_e32 v8, v5
	v_div_scale_f32 v4, vcc, s12, v4, s12
	s_mov_b32 s4, 0x3fb8aa3b
	v_fma_f32 v9, -v5, v8, 1.0
	v_fmac_f32_e32 v8, v9, v8
	v_mul_f32_e32 v9, v4, v8
	v_fma_f32 v10, -v5, v9, v4
	v_fmac_f32_e32 v9, v10, v8
	v_fma_f32 v4, -v5, v9, v4
	v_div_fmas_f32 v4, v4, v8, v9
	v_div_fixup_f32 v4, v4, |v6|, s12
	v_add_f32_e32 v4, -2.0, v4
	v_mov_b32_e32 v5, 0xa2b236d3
	v_fmac_f32_e32 v5, 0xa3056dbb, v4
	v_mov_b32_e32 v8, 0x23056dbb
	v_fmac_f32_e32 v8, v4, v5
	v_add_f32_e32 v8, 0x244df0c1, v8
	v_fma_f32 v5, v4, v8, -v5
	v_add_f32_e32 v5, 0x241f9ee8, v5
	v_fma_f32 v8, v4, v5, -v8
	;; [unrolled: 2-line block ×17, first 2 shown]
	v_add_f32_e32 v5, 0x32c2b494, v5
	v_mul_f32_e64 v9, |v6|, s4
	v_fma_f32 v8, v4, v5, -v8
	v_rndne_f32_e32 v10, v9
	v_add_f32_e32 v8, 0x345c003f, v8
	v_sub_f32_e32 v11, v9, v10
	v_fma_f32 v9, |v6|, s4, -v9
	s_mov_b32 s4, 0x32a5705f
	v_fma_f32 v5, v4, v8, -v5
	v_fma_f32 v9, |v6|, s4, v9
	v_add_f32_e32 v5, 0x3642095e, v5
	v_add_f32_e32 v9, v11, v9
	v_fma_f32 v8, v4, v5, -v8
	v_exp_f32_e32 v9, v9
	v_cvt_i32_f32_e32 v10, v10
	v_add_f32_e32 v8, 0x38907d1c, v8
	v_fma_f32 v5, v4, v8, -v5
	v_add_f32_e32 v5, 0x3b5ccc65, v5
	s_mov_b32 s4, 0xc2ce8ed0
	v_fma_f32 v4, v4, v5, -v8
	v_ldexp_f32 v5, v9, v10
	v_cmp_nlt_f32_e64 vcc, |v6|, s4
	s_mov_b32 s4, 0x42b17218
	v_cndmask_b32_e32 v5, 0, v5, vcc
	v_mov_b32_e32 v9, 0x7f800000
	v_cmp_ngt_f32_e64 vcc, |v6|, s4
	s_mov_b32 s4, 0xf800000
	s_mov_b32 s5, 0x4f800000
	v_cndmask_b32_e32 v5, v9, v5, vcc
	v_mul_f32_e64 v9, |v6|, s5
	v_cmp_lt_f32_e64 vcc, |v6|, s4
	v_cndmask_b32_e64 v6, |v6|, v9, vcc
	v_sqrt_f32_e32 v9, v6
	v_add_f32_e32 v4, 0x3f4df315, v4
	v_sub_f32_e32 v4, v4, v8
	v_mul_f32_e32 v4, 0.5, v4
	v_mul_f32_e32 v4, v5, v4
	v_add_u32_e32 v5, -1, v9
	v_fma_f32 v8, -v5, v9, v6
	v_cmp_ge_f32_e64 s[4:5], 0, v8
	v_add_u32_e32 v8, 1, v9
	v_cndmask_b32_e64 v5, v9, v5, s[4:5]
	v_fma_f32 v9, -v8, v9, v6
	v_cmp_lt_f32_e64 s[4:5], 0, v9
	v_cndmask_b32_e64 v5, v5, v8, s[4:5]
	v_mul_f32_e32 v8, 0x37800000, v5
	v_cndmask_b32_e32 v5, v5, v8, vcc
	v_mov_b32_e32 v8, 0x260
	v_cmp_class_f32_e32 vcc, v6, v8
	v_cndmask_b32_e32 v5, v5, v6, vcc
	v_div_scale_f32 v6, s[4:5], v5, v5, v4
	v_rcp_f32_e32 v8, v6
	v_fma_f32 v9, -v6, v8, 1.0
	v_fmac_f32_e32 v8, v9, v8
	v_div_scale_f32 v9, vcc, v4, v5, v4
	v_mul_f32_e32 v10, v9, v8
	v_fma_f32 v11, -v6, v10, v9
	v_fmac_f32_e32 v10, v11, v8
	v_fma_f32 v6, -v6, v10, v9
	v_div_fmas_f32 v6, v6, v8, v10
	v_div_fixup_f32 v4, v6, v5, v4
.LBB14_7:
	s_or_b64 exec, exec, s[10:11]
	s_mov_b32 s4, 0x41000000
	v_cmp_le_f32_e64 s[4:5], |v7|, s4
	s_and_saveexec_b64 s[10:11], s[4:5]
	s_xor_b64 s[4:5], exec, s[10:11]
	s_cbranch_execz .LBB14_9
; %bb.8:
	v_fma_f32 v5, |v7|, 0.5, -2.0
	v_mov_b32_e32 v6, 0x24199b15
	v_fmac_f32_e32 v6, 0xa2a2e5b9, v5
	v_mov_b32_e32 v8, 0x22a2e5b9
	v_fmac_f32_e32 v8, v5, v6
	v_add_f32_e32 v8, 0xa58c275c, v8
	v_fma_f32 v6, v5, v8, -v6
	v_add_f32_e32 v6, 0x26f736c5, v6
	v_fma_f32 v8, v5, v6, -v8
	;; [unrolled: 2-line block ×22, first 2 shown]
	v_add_f32_e32 v8, 0xbcc274f8, v8
	s_mov_b32 s10, 0x3fb8aa3b
	v_fma_f32 v6, v5, v8, -v6
	v_mul_f32_e64 v9, |v7|, s10
	v_add_f32_e32 v6, 0x3d49f456, v6
	v_rndne_f32_e32 v10, v9
	v_fma_f32 v8, v5, v6, -v8
	v_sub_f32_e32 v11, v9, v10
	v_fma_f32 v9, |v7|, s10, -v9
	s_mov_b32 s10, 0x32a5705f
	v_add_f32_e32 v8, 0xbdc25b82, v8
	v_fma_f32 v9, |v7|, s10, v9
	v_fma_f32 v6, v5, v8, -v6
	v_add_f32_e32 v9, v11, v9
	v_add_f32_e32 v6, 0x3e2fbd64, v6
	v_exp_f32_e32 v9, v9
	v_cvt_i32_f32_e32 v10, v10
	v_fma_f32 v8, v5, v6, -v8
	v_add_f32_e32 v8, 0xbe9bff5e, v8
	v_fma_f32 v5, v5, v8, -v6
	s_mov_b32 s10, 0xc2ce8ed0
	v_add_f32_e32 v5, 0x3f2d4275, v5
	v_ldexp_f32 v8, v9, v10
	v_cmp_nlt_f32_e64 vcc, |v7|, s10
	s_mov_b32 s10, 0x42b17218
	v_cndmask_b32_e32 v8, 0, v8, vcc
	v_mov_b32_e32 v9, 0x7f800000
	v_cmp_ngt_f32_e64 vcc, |v7|, s10
	v_sub_f32_e32 v5, v5, v6
	v_cndmask_b32_e32 v7, v9, v8, vcc
	v_mul_f32_e32 v5, 0.5, v5
	v_mul_f32_e32 v5, v7, v5
                                        ; implicit-def: $vgpr6_vgpr7
.LBB14_9:
	s_andn2_saveexec_b64 s[10:11], s[4:5]
	s_cbranch_execz .LBB14_11
; %bb.10:
	v_and_b32_e32 v5, 0x7fffffff, v7
	s_mov_b32 s12, 0x42000000
	v_div_scale_f32 v6, s[4:5], v5, v5, s12
	v_rcp_f32_e32 v8, v6
	v_div_scale_f32 v5, vcc, s12, v5, s12
	s_mov_b32 s4, 0x3fb8aa3b
	v_fma_f32 v9, -v6, v8, 1.0
	v_fmac_f32_e32 v8, v9, v8
	v_mul_f32_e32 v9, v5, v8
	v_fma_f32 v10, -v6, v9, v5
	v_fmac_f32_e32 v9, v10, v8
	v_fma_f32 v5, -v6, v9, v5
	v_div_fmas_f32 v5, v5, v8, v9
	v_div_fixup_f32 v5, v5, |v7|, s12
	v_add_f32_e32 v5, -2.0, v5
	v_mov_b32_e32 v6, 0xa2b236d3
	v_fmac_f32_e32 v6, 0xa3056dbb, v5
	v_mov_b32_e32 v8, 0x23056dbb
	v_fmac_f32_e32 v8, v5, v6
	v_add_f32_e32 v8, 0x244df0c1, v8
	v_fma_f32 v6, v5, v8, -v6
	v_add_f32_e32 v6, 0x241f9ee8, v6
	v_fma_f32 v8, v5, v6, -v8
	;; [unrolled: 2-line block ×17, first 2 shown]
	v_add_f32_e32 v6, 0x32c2b494, v6
	v_mul_f32_e64 v9, |v7|, s4
	v_fma_f32 v8, v5, v6, -v8
	v_rndne_f32_e32 v10, v9
	v_add_f32_e32 v8, 0x345c003f, v8
	v_sub_f32_e32 v11, v9, v10
	v_fma_f32 v9, |v7|, s4, -v9
	s_mov_b32 s4, 0x32a5705f
	v_fma_f32 v6, v5, v8, -v6
	v_fma_f32 v9, |v7|, s4, v9
	v_add_f32_e32 v6, 0x3642095e, v6
	v_add_f32_e32 v9, v11, v9
	v_fma_f32 v8, v5, v6, -v8
	v_exp_f32_e32 v9, v9
	v_cvt_i32_f32_e32 v10, v10
	v_add_f32_e32 v8, 0x38907d1c, v8
	v_fma_f32 v6, v5, v8, -v6
	v_add_f32_e32 v6, 0x3b5ccc65, v6
	s_mov_b32 s4, 0xc2ce8ed0
	v_fma_f32 v5, v5, v6, -v8
	v_ldexp_f32 v6, v9, v10
	v_cmp_nlt_f32_e64 vcc, |v7|, s4
	s_mov_b32 s4, 0x42b17218
	v_cndmask_b32_e32 v6, 0, v6, vcc
	v_mov_b32_e32 v9, 0x7f800000
	v_cmp_ngt_f32_e64 vcc, |v7|, s4
	s_mov_b32 s4, 0xf800000
	s_mov_b32 s5, 0x4f800000
	v_cndmask_b32_e32 v6, v9, v6, vcc
	v_mul_f32_e64 v9, |v7|, s5
	v_cmp_lt_f32_e64 vcc, |v7|, s4
	v_cndmask_b32_e64 v7, |v7|, v9, vcc
	v_sqrt_f32_e32 v9, v7
	v_add_f32_e32 v5, 0x3f4df315, v5
	v_sub_f32_e32 v5, v5, v8
	v_mul_f32_e32 v5, 0.5, v5
	v_mul_f32_e32 v5, v6, v5
	v_add_u32_e32 v6, -1, v9
	v_fma_f32 v8, -v6, v9, v7
	v_cmp_ge_f32_e64 s[4:5], 0, v8
	v_add_u32_e32 v8, 1, v9
	v_cndmask_b32_e64 v6, v9, v6, s[4:5]
	v_fma_f32 v9, -v8, v9, v7
	v_cmp_lt_f32_e64 s[4:5], 0, v9
	v_cndmask_b32_e64 v6, v6, v8, s[4:5]
	v_mul_f32_e32 v8, 0x37800000, v6
	v_cndmask_b32_e32 v6, v6, v8, vcc
	v_mov_b32_e32 v8, 0x260
	v_cmp_class_f32_e32 vcc, v7, v8
	v_cndmask_b32_e32 v6, v6, v7, vcc
	v_div_scale_f32 v7, s[4:5], v6, v6, v5
	v_rcp_f32_e32 v8, v7
	v_fma_f32 v9, -v7, v8, 1.0
	v_fmac_f32_e32 v8, v9, v8
	v_div_scale_f32 v9, vcc, v5, v6, v5
	v_mul_f32_e32 v10, v9, v8
	v_fma_f32 v11, -v7, v10, v9
	v_fmac_f32_e32 v10, v11, v8
	v_fma_f32 v7, -v7, v10, v9
	v_div_fmas_f32 v7, v7, v8, v10
	v_div_fixup_f32 v5, v7, v6, v5
.LBB14_11:
	s_or_b64 exec, exec, s[10:11]
	s_mov_b32 s4, 0x41000000
	s_waitcnt vmcnt(0)
	v_cmp_le_f32_e64 s[4:5], |v2|, s4
                                        ; implicit-def: $vgpr6
	s_and_saveexec_b64 s[10:11], s[4:5]
	s_xor_b64 s[4:5], exec, s[10:11]
	s_cbranch_execz .LBB14_13
; %bb.12:
	v_fma_f32 v6, |v2|, 0.5, -2.0
	v_mov_b32_e32 v7, 0x24199b15
	v_fmac_f32_e32 v7, 0xa2a2e5b9, v6
	v_mov_b32_e32 v8, 0x22a2e5b9
	v_fmac_f32_e32 v8, v6, v7
	v_add_f32_e32 v8, 0xa58c275c, v8
	v_fma_f32 v7, v6, v8, -v7
	v_add_f32_e32 v7, 0x26f736c5, v7
	v_fma_f32 v8, v6, v7, -v8
	;; [unrolled: 2-line block ×22, first 2 shown]
	v_add_f32_e32 v8, 0xbcc274f8, v8
	s_mov_b32 s10, 0x3fb8aa3b
	v_fma_f32 v7, v6, v8, -v7
	v_mul_f32_e64 v9, |v2|, s10
	v_add_f32_e32 v7, 0x3d49f456, v7
	v_rndne_f32_e32 v10, v9
	v_fma_f32 v8, v6, v7, -v8
	v_sub_f32_e32 v11, v9, v10
	v_fma_f32 v9, |v2|, s10, -v9
	s_mov_b32 s10, 0x32a5705f
	v_add_f32_e32 v8, 0xbdc25b82, v8
	v_fma_f32 v9, |v2|, s10, v9
	v_fma_f32 v7, v6, v8, -v7
	v_add_f32_e32 v9, v11, v9
	v_add_f32_e32 v7, 0x3e2fbd64, v7
	v_exp_f32_e32 v9, v9
	v_cvt_i32_f32_e32 v10, v10
	v_fma_f32 v8, v6, v7, -v8
	v_add_f32_e32 v8, 0xbe9bff5e, v8
	v_fma_f32 v6, v6, v8, -v7
	s_mov_b32 s10, 0xc2ce8ed0
	v_add_f32_e32 v6, 0x3f2d4275, v6
	v_ldexp_f32 v8, v9, v10
	v_cmp_nlt_f32_e64 vcc, |v2|, s10
	s_mov_b32 s10, 0x42b17218
	v_cndmask_b32_e32 v8, 0, v8, vcc
	v_mov_b32_e32 v9, 0x7f800000
	v_cmp_ngt_f32_e64 vcc, |v2|, s10
	v_sub_f32_e32 v6, v6, v7
	v_cndmask_b32_e32 v8, v9, v8, vcc
	v_mul_f32_e32 v6, 0.5, v6
	v_mul_f32_e32 v6, v8, v6
.LBB14_13:
	s_andn2_saveexec_b64 s[10:11], s[4:5]
	s_cbranch_execz .LBB14_15
; %bb.14:
	v_and_b32_e32 v6, 0x7fffffff, v2
	s_mov_b32 s12, 0x42000000
	v_div_scale_f32 v7, s[4:5], v6, v6, s12
	v_rcp_f32_e32 v8, v7
	v_div_scale_f32 v6, vcc, s12, v6, s12
	s_mov_b32 s4, 0x3fb8aa3b
	v_fma_f32 v9, -v7, v8, 1.0
	v_fmac_f32_e32 v8, v9, v8
	v_mul_f32_e32 v9, v6, v8
	v_fma_f32 v10, -v7, v9, v6
	v_fmac_f32_e32 v9, v10, v8
	v_fma_f32 v6, -v7, v9, v6
	v_div_fmas_f32 v6, v6, v8, v9
	v_div_fixup_f32 v6, v6, |v2|, s12
	v_add_f32_e32 v6, -2.0, v6
	v_mov_b32_e32 v7, 0xa2b236d3
	v_fmac_f32_e32 v7, 0xa3056dbb, v6
	v_mov_b32_e32 v8, 0x23056dbb
	v_fmac_f32_e32 v8, v6, v7
	v_add_f32_e32 v8, 0x244df0c1, v8
	v_fma_f32 v7, v6, v8, -v7
	v_add_f32_e32 v7, 0x241f9ee8, v7
	v_fma_f32 v8, v6, v7, -v8
	;; [unrolled: 2-line block ×17, first 2 shown]
	v_add_f32_e32 v7, 0x32c2b494, v7
	v_mul_f32_e64 v9, |v2|, s4
	v_fma_f32 v8, v6, v7, -v8
	v_rndne_f32_e32 v10, v9
	v_add_f32_e32 v8, 0x345c003f, v8
	v_sub_f32_e32 v11, v9, v10
	v_fma_f32 v9, |v2|, s4, -v9
	s_mov_b32 s4, 0x32a5705f
	v_fma_f32 v7, v6, v8, -v7
	v_fma_f32 v9, |v2|, s4, v9
	v_add_f32_e32 v7, 0x3642095e, v7
	v_add_f32_e32 v9, v11, v9
	v_fma_f32 v8, v6, v7, -v8
	v_exp_f32_e32 v9, v9
	v_cvt_i32_f32_e32 v10, v10
	v_add_f32_e32 v8, 0x38907d1c, v8
	v_fma_f32 v7, v6, v8, -v7
	v_add_f32_e32 v7, 0x3b5ccc65, v7
	s_mov_b32 s4, 0xc2ce8ed0
	v_fma_f32 v6, v6, v7, -v8
	v_ldexp_f32 v7, v9, v10
	v_cmp_nlt_f32_e64 vcc, |v2|, s4
	s_mov_b32 s4, 0x42b17218
	v_cndmask_b32_e32 v7, 0, v7, vcc
	v_mov_b32_e32 v9, 0x7f800000
	v_cmp_ngt_f32_e64 vcc, |v2|, s4
	s_mov_b32 s4, 0xf800000
	s_mov_b32 s5, 0x4f800000
	v_cndmask_b32_e32 v7, v9, v7, vcc
	v_mul_f32_e64 v9, |v2|, s5
	v_cmp_lt_f32_e64 vcc, |v2|, s4
	v_cndmask_b32_e64 v2, |v2|, v9, vcc
	v_sqrt_f32_e32 v9, v2
	v_add_f32_e32 v6, 0x3f4df315, v6
	v_sub_f32_e32 v6, v6, v8
	v_mul_f32_e32 v6, 0.5, v6
	v_mul_f32_e32 v6, v7, v6
	v_add_u32_e32 v7, -1, v9
	v_fma_f32 v8, -v7, v9, v2
	v_cmp_ge_f32_e64 s[4:5], 0, v8
	v_add_u32_e32 v8, 1, v9
	v_cndmask_b32_e64 v7, v9, v7, s[4:5]
	v_fma_f32 v9, -v8, v9, v2
	v_cmp_lt_f32_e64 s[4:5], 0, v9
	v_cndmask_b32_e64 v7, v7, v8, s[4:5]
	v_mul_f32_e32 v8, 0x37800000, v7
	v_cndmask_b32_e32 v7, v7, v8, vcc
	v_mov_b32_e32 v8, 0x260
	v_cmp_class_f32_e32 vcc, v2, v8
	v_cndmask_b32_e32 v2, v7, v2, vcc
	v_div_scale_f32 v7, s[4:5], v2, v2, v6
	v_rcp_f32_e32 v8, v7
	v_fma_f32 v9, -v7, v8, 1.0
	v_fmac_f32_e32 v8, v9, v8
	v_div_scale_f32 v9, vcc, v6, v2, v6
	v_mul_f32_e32 v10, v9, v8
	v_fma_f32 v11, -v7, v10, v9
	v_fmac_f32_e32 v10, v11, v8
	v_fma_f32 v7, -v7, v10, v9
	v_div_fmas_f32 v7, v7, v8, v10
	v_div_fixup_f32 v6, v7, v2, v6
.LBB14_15:
	s_or_b64 exec, exec, s[10:11]
	s_mov_b32 s4, 0x41000000
	v_cmp_le_f32_e64 s[4:5], |v3|, s4
	s_and_saveexec_b64 s[10:11], s[4:5]
	s_xor_b64 s[4:5], exec, s[10:11]
	s_cbranch_execz .LBB14_17
; %bb.16:
	v_fma_f32 v2, |v3|, 0.5, -2.0
	v_mov_b32_e32 v7, 0x24199b15
	v_fmac_f32_e32 v7, 0xa2a2e5b9, v2
	v_mov_b32_e32 v8, 0x22a2e5b9
	v_fmac_f32_e32 v8, v2, v7
	v_add_f32_e32 v8, 0xa58c275c, v8
	v_fma_f32 v7, v2, v8, -v7
	v_add_f32_e32 v7, 0x26f736c5, v7
	v_fma_f32 v8, v2, v7, -v8
	;; [unrolled: 2-line block ×22, first 2 shown]
	v_add_f32_e32 v8, 0xbcc274f8, v8
	s_mov_b32 s10, 0x3fb8aa3b
	v_fma_f32 v7, v2, v8, -v7
	v_mul_f32_e64 v9, |v3|, s10
	v_add_f32_e32 v7, 0x3d49f456, v7
	v_rndne_f32_e32 v10, v9
	v_fma_f32 v8, v2, v7, -v8
	v_sub_f32_e32 v11, v9, v10
	v_fma_f32 v9, |v3|, s10, -v9
	s_mov_b32 s10, 0x32a5705f
	v_add_f32_e32 v8, 0xbdc25b82, v8
	v_fma_f32 v9, |v3|, s10, v9
	v_fma_f32 v7, v2, v8, -v7
	v_add_f32_e32 v9, v11, v9
	v_add_f32_e32 v7, 0x3e2fbd64, v7
	v_exp_f32_e32 v9, v9
	v_cvt_i32_f32_e32 v10, v10
	v_fma_f32 v8, v2, v7, -v8
	v_add_f32_e32 v8, 0xbe9bff5e, v8
	v_fma_f32 v2, v2, v8, -v7
	s_mov_b32 s10, 0xc2ce8ed0
	v_add_f32_e32 v2, 0x3f2d4275, v2
	v_ldexp_f32 v8, v9, v10
	v_cmp_nlt_f32_e64 vcc, |v3|, s10
	s_mov_b32 s10, 0x42b17218
	v_cndmask_b32_e32 v8, 0, v8, vcc
	v_mov_b32_e32 v9, 0x7f800000
	v_cmp_ngt_f32_e64 vcc, |v3|, s10
	v_sub_f32_e32 v2, v2, v7
	v_cndmask_b32_e32 v3, v9, v8, vcc
	v_mul_f32_e32 v2, 0.5, v2
	v_mul_f32_e32 v7, v3, v2
                                        ; implicit-def: $vgpr2_vgpr3
.LBB14_17:
	s_andn2_saveexec_b64 s[10:11], s[4:5]
	s_cbranch_execz .LBB14_19
; %bb.18:
	v_and_b32_e32 v2, 0x7fffffff, v3
	s_mov_b32 s12, 0x42000000
	v_div_scale_f32 v7, s[4:5], v2, v2, s12
	v_rcp_f32_e32 v8, v7
	v_div_scale_f32 v2, vcc, s12, v2, s12
	s_mov_b32 s4, 0x3fb8aa3b
	v_fma_f32 v9, -v7, v8, 1.0
	v_fmac_f32_e32 v8, v9, v8
	v_mul_f32_e32 v9, v2, v8
	v_fma_f32 v10, -v7, v9, v2
	v_fmac_f32_e32 v9, v10, v8
	v_fma_f32 v2, -v7, v9, v2
	v_div_fmas_f32 v2, v2, v8, v9
	v_div_fixup_f32 v2, v2, |v3|, s12
	v_add_f32_e32 v2, -2.0, v2
	v_mov_b32_e32 v7, 0xa2b236d3
	v_fmac_f32_e32 v7, 0xa3056dbb, v2
	v_mov_b32_e32 v8, 0x23056dbb
	v_fmac_f32_e32 v8, v2, v7
	v_add_f32_e32 v8, 0x244df0c1, v8
	v_fma_f32 v7, v2, v8, -v7
	v_add_f32_e32 v7, 0x241f9ee8, v7
	v_fma_f32 v8, v2, v7, -v8
	;; [unrolled: 2-line block ×17, first 2 shown]
	v_add_f32_e32 v7, 0x32c2b494, v7
	v_mul_f32_e64 v9, |v3|, s4
	v_fma_f32 v8, v2, v7, -v8
	v_rndne_f32_e32 v10, v9
	v_add_f32_e32 v8, 0x345c003f, v8
	v_sub_f32_e32 v11, v9, v10
	v_fma_f32 v9, |v3|, s4, -v9
	s_mov_b32 s4, 0x32a5705f
	v_fma_f32 v7, v2, v8, -v7
	v_fma_f32 v9, |v3|, s4, v9
	v_add_f32_e32 v7, 0x3642095e, v7
	v_add_f32_e32 v9, v11, v9
	v_fma_f32 v8, v2, v7, -v8
	v_exp_f32_e32 v9, v9
	v_cvt_i32_f32_e32 v10, v10
	v_add_f32_e32 v8, 0x38907d1c, v8
	v_fma_f32 v7, v2, v8, -v7
	v_add_f32_e32 v7, 0x3b5ccc65, v7
	s_mov_b32 s4, 0xc2ce8ed0
	v_fma_f32 v2, v2, v7, -v8
	v_ldexp_f32 v7, v9, v10
	v_cmp_nlt_f32_e64 vcc, |v3|, s4
	s_mov_b32 s4, 0x42b17218
	v_cndmask_b32_e32 v7, 0, v7, vcc
	v_mov_b32_e32 v9, 0x7f800000
	v_cmp_ngt_f32_e64 vcc, |v3|, s4
	s_mov_b32 s4, 0xf800000
	s_mov_b32 s5, 0x4f800000
	v_cndmask_b32_e32 v7, v9, v7, vcc
	v_mul_f32_e64 v9, |v3|, s5
	v_cmp_lt_f32_e64 vcc, |v3|, s4
	v_cndmask_b32_e64 v3, |v3|, v9, vcc
	v_sqrt_f32_e32 v9, v3
	v_add_f32_e32 v2, 0x3f4df315, v2
	v_sub_f32_e32 v2, v2, v8
	v_mul_f32_e32 v2, 0.5, v2
	v_mul_f32_e32 v2, v7, v2
	v_add_u32_e32 v7, -1, v9
	v_fma_f32 v8, -v7, v9, v3
	v_cmp_ge_f32_e64 s[4:5], 0, v8
	v_add_u32_e32 v8, 1, v9
	v_cndmask_b32_e64 v7, v9, v7, s[4:5]
	v_fma_f32 v9, -v8, v9, v3
	v_cmp_lt_f32_e64 s[4:5], 0, v9
	v_cndmask_b32_e64 v7, v7, v8, s[4:5]
	v_mul_f32_e32 v8, 0x37800000, v7
	v_cndmask_b32_e32 v7, v7, v8, vcc
	v_mov_b32_e32 v8, 0x260
	v_cmp_class_f32_e32 vcc, v3, v8
	v_cndmask_b32_e32 v3, v7, v3, vcc
	v_div_scale_f32 v7, s[4:5], v3, v3, v2
	v_rcp_f32_e32 v8, v7
	v_fma_f32 v9, -v7, v8, 1.0
	v_fmac_f32_e32 v8, v9, v8
	v_div_scale_f32 v9, vcc, v2, v3, v2
	v_mul_f32_e32 v10, v9, v8
	v_fma_f32 v11, -v7, v10, v9
	v_fmac_f32_e32 v10, v11, v8
	v_fma_f32 v7, -v7, v10, v9
	v_div_fmas_f32 v7, v7, v8, v10
	v_div_fixup_f32 v7, v7, v3, v2
.LBB14_19:
	s_or_b64 exec, exec, s[10:11]
	s_add_u32 s4, s16, s6
	s_addc_u32 s5, s17, s7
	global_store_dwordx2 v1, v[4:5], s[4:5]
	global_store_dwordx2 v1, v[6:7], s[4:5] offset:2048
	s_branch .LBB14_2
.LBB14_20:
	s_mov_b32 s12, s8
	v_mov_b32_e32 v31, v0
	v_mov_b32_e32 v0, s16
	;; [unrolled: 1-line block ×6, first 2 shown]
	s_getpc_b64 s[4:5]
	s_add_u32 s4, s4, _ZN2at6native25elementwise_kernel_helperILb0EZZZNS0_12_GLOBAL__N_130modified_bessel_i0_kernel_cudaERNS_18TensorIteratorBaseEENKUlvE_clEvENKUlvE0_clEvEUlfE_NS0_6memory8policies11unroll_baseILi256ESt5arrayIPcLm2EE23TrivialOffsetCalculatorILi1EjESF_NS8_15LoadWithoutCastENS8_16StoreWithoutCastELi4ELi1EEEEEvT0_T1_@rel32@lo+4
	s_addc_u32 s5, s5, _ZN2at6native25elementwise_kernel_helperILb0EZZZNS0_12_GLOBAL__N_130modified_bessel_i0_kernel_cudaERNS_18TensorIteratorBaseEENKUlvE_clEvENKUlvE0_clEvEUlfE_NS0_6memory8policies11unroll_baseILi256ESt5arrayIPcLm2EE23TrivialOffsetCalculatorILi1EjESF_NS8_15LoadWithoutCastENS8_16StoreWithoutCastELi4ELi1EEEEEvT0_T1_@rel32@hi+12
	s_swappc_b64 s[30:31], s[4:5]
	s_endpgm
	.section	.rodata,"a",@progbits
	.p2align	6, 0x0
	.amdhsa_kernel _ZN2at6native29vectorized_elementwise_kernelILi2EZZZNS0_12_GLOBAL__N_130modified_bessel_i0_kernel_cudaERNS_18TensorIteratorBaseEENKUlvE_clEvENKUlvE0_clEvEUlfE_St5arrayIPcLm2EEEEviT0_T1_
		.amdhsa_group_segment_fixed_size 0
		.amdhsa_private_segment_fixed_size 0
		.amdhsa_kernarg_size 24
		.amdhsa_user_sgpr_count 8
		.amdhsa_user_sgpr_private_segment_buffer 1
		.amdhsa_user_sgpr_dispatch_ptr 0
		.amdhsa_user_sgpr_queue_ptr 0
		.amdhsa_user_sgpr_kernarg_segment_ptr 1
		.amdhsa_user_sgpr_dispatch_id 0
		.amdhsa_user_sgpr_flat_scratch_init 1
		.amdhsa_user_sgpr_kernarg_preload_length 0
		.amdhsa_user_sgpr_kernarg_preload_offset 0
		.amdhsa_user_sgpr_private_segment_size 0
		.amdhsa_uses_dynamic_stack 0
		.amdhsa_system_sgpr_private_segment_wavefront_offset 0
		.amdhsa_system_sgpr_workgroup_id_x 1
		.amdhsa_system_sgpr_workgroup_id_y 0
		.amdhsa_system_sgpr_workgroup_id_z 0
		.amdhsa_system_sgpr_workgroup_info 0
		.amdhsa_system_vgpr_workitem_id 0
		.amdhsa_next_free_vgpr 32
		.amdhsa_next_free_sgpr 33
		.amdhsa_accum_offset 32
		.amdhsa_reserve_vcc 1
		.amdhsa_reserve_flat_scratch 1
		.amdhsa_float_round_mode_32 0
		.amdhsa_float_round_mode_16_64 0
		.amdhsa_float_denorm_mode_32 3
		.amdhsa_float_denorm_mode_16_64 3
		.amdhsa_dx10_clamp 1
		.amdhsa_ieee_mode 1
		.amdhsa_fp16_overflow 0
		.amdhsa_tg_split 0
		.amdhsa_exception_fp_ieee_invalid_op 0
		.amdhsa_exception_fp_denorm_src 0
		.amdhsa_exception_fp_ieee_div_zero 0
		.amdhsa_exception_fp_ieee_overflow 0
		.amdhsa_exception_fp_ieee_underflow 0
		.amdhsa_exception_fp_ieee_inexact 0
		.amdhsa_exception_int_div_zero 0
	.end_amdhsa_kernel
	.section	.text._ZN2at6native29vectorized_elementwise_kernelILi2EZZZNS0_12_GLOBAL__N_130modified_bessel_i0_kernel_cudaERNS_18TensorIteratorBaseEENKUlvE_clEvENKUlvE0_clEvEUlfE_St5arrayIPcLm2EEEEviT0_T1_,"axG",@progbits,_ZN2at6native29vectorized_elementwise_kernelILi2EZZZNS0_12_GLOBAL__N_130modified_bessel_i0_kernel_cudaERNS_18TensorIteratorBaseEENKUlvE_clEvENKUlvE0_clEvEUlfE_St5arrayIPcLm2EEEEviT0_T1_,comdat
.Lfunc_end14:
	.size	_ZN2at6native29vectorized_elementwise_kernelILi2EZZZNS0_12_GLOBAL__N_130modified_bessel_i0_kernel_cudaERNS_18TensorIteratorBaseEENKUlvE_clEvENKUlvE0_clEvEUlfE_St5arrayIPcLm2EEEEviT0_T1_, .Lfunc_end14-_ZN2at6native29vectorized_elementwise_kernelILi2EZZZNS0_12_GLOBAL__N_130modified_bessel_i0_kernel_cudaERNS_18TensorIteratorBaseEENKUlvE_clEvENKUlvE0_clEvEUlfE_St5arrayIPcLm2EEEEviT0_T1_
                                        ; -- End function
	.section	.AMDGPU.csdata,"",@progbits
; Kernel info:
; codeLenInByte = 6008
; NumSgprs: 39
; NumVgprs: 32
; NumAgprs: 0
; TotalNumVgprs: 32
; ScratchSize: 0
; MemoryBound: 0
; FloatMode: 240
; IeeeMode: 1
; LDSByteSize: 0 bytes/workgroup (compile time only)
; SGPRBlocks: 4
; VGPRBlocks: 3
; NumSGPRsForWavesPerEU: 39
; NumVGPRsForWavesPerEU: 32
; AccumOffset: 32
; Occupancy: 8
; WaveLimiterHint : 1
; COMPUTE_PGM_RSRC2:SCRATCH_EN: 0
; COMPUTE_PGM_RSRC2:USER_SGPR: 8
; COMPUTE_PGM_RSRC2:TRAP_HANDLER: 0
; COMPUTE_PGM_RSRC2:TGID_X_EN: 1
; COMPUTE_PGM_RSRC2:TGID_Y_EN: 0
; COMPUTE_PGM_RSRC2:TGID_Z_EN: 0
; COMPUTE_PGM_RSRC2:TIDIG_COMP_CNT: 0
; COMPUTE_PGM_RSRC3_GFX90A:ACCUM_OFFSET: 7
; COMPUTE_PGM_RSRC3_GFX90A:TG_SPLIT: 0
	.section	.text._ZN2at6native27unrolled_elementwise_kernelIZZZNS0_12_GLOBAL__N_130modified_bessel_i0_kernel_cudaERNS_18TensorIteratorBaseEENKUlvE_clEvENKUlvE0_clEvEUlfE_St5arrayIPcLm2EELi4E23TrivialOffsetCalculatorILi1EjESC_NS0_6memory15LoadWithoutCastENSD_16StoreWithoutCastEEEviT_T0_T2_T3_T4_T5_,"axG",@progbits,_ZN2at6native27unrolled_elementwise_kernelIZZZNS0_12_GLOBAL__N_130modified_bessel_i0_kernel_cudaERNS_18TensorIteratorBaseEENKUlvE_clEvENKUlvE0_clEvEUlfE_St5arrayIPcLm2EELi4E23TrivialOffsetCalculatorILi1EjESC_NS0_6memory15LoadWithoutCastENSD_16StoreWithoutCastEEEviT_T0_T2_T3_T4_T5_,comdat
	.globl	_ZN2at6native27unrolled_elementwise_kernelIZZZNS0_12_GLOBAL__N_130modified_bessel_i0_kernel_cudaERNS_18TensorIteratorBaseEENKUlvE_clEvENKUlvE0_clEvEUlfE_St5arrayIPcLm2EELi4E23TrivialOffsetCalculatorILi1EjESC_NS0_6memory15LoadWithoutCastENSD_16StoreWithoutCastEEEviT_T0_T2_T3_T4_T5_ ; -- Begin function _ZN2at6native27unrolled_elementwise_kernelIZZZNS0_12_GLOBAL__N_130modified_bessel_i0_kernel_cudaERNS_18TensorIteratorBaseEENKUlvE_clEvENKUlvE0_clEvEUlfE_St5arrayIPcLm2EELi4E23TrivialOffsetCalculatorILi1EjESC_NS0_6memory15LoadWithoutCastENSD_16StoreWithoutCastEEEviT_T0_T2_T3_T4_T5_
	.p2align	8
	.type	_ZN2at6native27unrolled_elementwise_kernelIZZZNS0_12_GLOBAL__N_130modified_bessel_i0_kernel_cudaERNS_18TensorIteratorBaseEENKUlvE_clEvENKUlvE0_clEvEUlfE_St5arrayIPcLm2EELi4E23TrivialOffsetCalculatorILi1EjESC_NS0_6memory15LoadWithoutCastENSD_16StoreWithoutCastEEEviT_T0_T2_T3_T4_T5_,@function
_ZN2at6native27unrolled_elementwise_kernelIZZZNS0_12_GLOBAL__N_130modified_bessel_i0_kernel_cudaERNS_18TensorIteratorBaseEENKUlvE_clEvENKUlvE0_clEvEUlfE_St5arrayIPcLm2EELi4E23TrivialOffsetCalculatorILi1EjESC_NS0_6memory15LoadWithoutCastENSD_16StoreWithoutCastEEEviT_T0_T2_T3_T4_T5_: ; @_ZN2at6native27unrolled_elementwise_kernelIZZZNS0_12_GLOBAL__N_130modified_bessel_i0_kernel_cudaERNS_18TensorIteratorBaseEENKUlvE_clEvENKUlvE0_clEvEUlfE_St5arrayIPcLm2EELi4E23TrivialOffsetCalculatorILi1EjESC_NS0_6memory15LoadWithoutCastENSD_16StoreWithoutCastEEEviT_T0_T2_T3_T4_T5_
; %bb.0:
	s_add_u32 flat_scratch_lo, s6, s9
	s_load_dword s6, s[4:5], 0x0
	s_load_dwordx4 s[16:19], s[4:5], 0x8
	s_addc_u32 flat_scratch_hi, s7, 0
	s_add_u32 s0, s0, s9
	s_addc_u32 s1, s1, 0
	s_lshl_b32 s4, s8, 10
	s_waitcnt lgkmcnt(0)
	s_sub_i32 s6, s6, s4
	s_mov_b32 s12, s8
	v_mov_b32_e32 v31, v0
	v_mov_b32_e32 v0, s16
	;; [unrolled: 1-line block ×6, first 2 shown]
	s_mov_b32 s32, 0
	s_getpc_b64 s[4:5]
	s_add_u32 s4, s4, _ZN2at6native25elementwise_kernel_helperILb0EZZZNS0_12_GLOBAL__N_130modified_bessel_i0_kernel_cudaERNS_18TensorIteratorBaseEENKUlvE_clEvENKUlvE0_clEvEUlfE_NS0_6memory8policies11unroll_baseILi256ESt5arrayIPcLm2EE23TrivialOffsetCalculatorILi1EjESF_NS8_15LoadWithoutCastENS8_16StoreWithoutCastELi4ELi1EEEEEvT0_T1_@rel32@lo+4
	s_addc_u32 s5, s5, _ZN2at6native25elementwise_kernel_helperILb0EZZZNS0_12_GLOBAL__N_130modified_bessel_i0_kernel_cudaERNS_18TensorIteratorBaseEENKUlvE_clEvENKUlvE0_clEvEUlfE_NS0_6memory8policies11unroll_baseILi256ESt5arrayIPcLm2EE23TrivialOffsetCalculatorILi1EjESF_NS8_15LoadWithoutCastENS8_16StoreWithoutCastELi4ELi1EEEEEvT0_T1_@rel32@hi+12
	s_swappc_b64 s[30:31], s[4:5]
	s_endpgm
	.section	.rodata,"a",@progbits
	.p2align	6, 0x0
	.amdhsa_kernel _ZN2at6native27unrolled_elementwise_kernelIZZZNS0_12_GLOBAL__N_130modified_bessel_i0_kernel_cudaERNS_18TensorIteratorBaseEENKUlvE_clEvENKUlvE0_clEvEUlfE_St5arrayIPcLm2EELi4E23TrivialOffsetCalculatorILi1EjESC_NS0_6memory15LoadWithoutCastENSD_16StoreWithoutCastEEEviT_T0_T2_T3_T4_T5_
		.amdhsa_group_segment_fixed_size 0
		.amdhsa_private_segment_fixed_size 0
		.amdhsa_kernarg_size 28
		.amdhsa_user_sgpr_count 8
		.amdhsa_user_sgpr_private_segment_buffer 1
		.amdhsa_user_sgpr_dispatch_ptr 0
		.amdhsa_user_sgpr_queue_ptr 0
		.amdhsa_user_sgpr_kernarg_segment_ptr 1
		.amdhsa_user_sgpr_dispatch_id 0
		.amdhsa_user_sgpr_flat_scratch_init 1
		.amdhsa_user_sgpr_kernarg_preload_length 0
		.amdhsa_user_sgpr_kernarg_preload_offset 0
		.amdhsa_user_sgpr_private_segment_size 0
		.amdhsa_uses_dynamic_stack 0
		.amdhsa_system_sgpr_private_segment_wavefront_offset 0
		.amdhsa_system_sgpr_workgroup_id_x 1
		.amdhsa_system_sgpr_workgroup_id_y 0
		.amdhsa_system_sgpr_workgroup_id_z 0
		.amdhsa_system_sgpr_workgroup_info 0
		.amdhsa_system_vgpr_workitem_id 0
		.amdhsa_next_free_vgpr 32
		.amdhsa_next_free_sgpr 33
		.amdhsa_accum_offset 32
		.amdhsa_reserve_vcc 1
		.amdhsa_reserve_flat_scratch 1
		.amdhsa_float_round_mode_32 0
		.amdhsa_float_round_mode_16_64 0
		.amdhsa_float_denorm_mode_32 3
		.amdhsa_float_denorm_mode_16_64 3
		.amdhsa_dx10_clamp 1
		.amdhsa_ieee_mode 1
		.amdhsa_fp16_overflow 0
		.amdhsa_tg_split 0
		.amdhsa_exception_fp_ieee_invalid_op 0
		.amdhsa_exception_fp_denorm_src 0
		.amdhsa_exception_fp_ieee_div_zero 0
		.amdhsa_exception_fp_ieee_overflow 0
		.amdhsa_exception_fp_ieee_underflow 0
		.amdhsa_exception_fp_ieee_inexact 0
		.amdhsa_exception_int_div_zero 0
	.end_amdhsa_kernel
	.section	.text._ZN2at6native27unrolled_elementwise_kernelIZZZNS0_12_GLOBAL__N_130modified_bessel_i0_kernel_cudaERNS_18TensorIteratorBaseEENKUlvE_clEvENKUlvE0_clEvEUlfE_St5arrayIPcLm2EELi4E23TrivialOffsetCalculatorILi1EjESC_NS0_6memory15LoadWithoutCastENSD_16StoreWithoutCastEEEviT_T0_T2_T3_T4_T5_,"axG",@progbits,_ZN2at6native27unrolled_elementwise_kernelIZZZNS0_12_GLOBAL__N_130modified_bessel_i0_kernel_cudaERNS_18TensorIteratorBaseEENKUlvE_clEvENKUlvE0_clEvEUlfE_St5arrayIPcLm2EELi4E23TrivialOffsetCalculatorILi1EjESC_NS0_6memory15LoadWithoutCastENSD_16StoreWithoutCastEEEviT_T0_T2_T3_T4_T5_,comdat
.Lfunc_end15:
	.size	_ZN2at6native27unrolled_elementwise_kernelIZZZNS0_12_GLOBAL__N_130modified_bessel_i0_kernel_cudaERNS_18TensorIteratorBaseEENKUlvE_clEvENKUlvE0_clEvEUlfE_St5arrayIPcLm2EELi4E23TrivialOffsetCalculatorILi1EjESC_NS0_6memory15LoadWithoutCastENSD_16StoreWithoutCastEEEviT_T0_T2_T3_T4_T5_, .Lfunc_end15-_ZN2at6native27unrolled_elementwise_kernelIZZZNS0_12_GLOBAL__N_130modified_bessel_i0_kernel_cudaERNS_18TensorIteratorBaseEENKUlvE_clEvENKUlvE0_clEvEUlfE_St5arrayIPcLm2EELi4E23TrivialOffsetCalculatorILi1EjESC_NS0_6memory15LoadWithoutCastENSD_16StoreWithoutCastEEEviT_T0_T2_T3_T4_T5_
                                        ; -- End function
	.section	.AMDGPU.csdata,"",@progbits
; Kernel info:
; codeLenInByte = 104
; NumSgprs: 39
; NumVgprs: 32
; NumAgprs: 0
; TotalNumVgprs: 32
; ScratchSize: 0
; MemoryBound: 0
; FloatMode: 240
; IeeeMode: 1
; LDSByteSize: 0 bytes/workgroup (compile time only)
; SGPRBlocks: 4
; VGPRBlocks: 3
; NumSGPRsForWavesPerEU: 39
; NumVGPRsForWavesPerEU: 32
; AccumOffset: 32
; Occupancy: 8
; WaveLimiterHint : 0
; COMPUTE_PGM_RSRC2:SCRATCH_EN: 0
; COMPUTE_PGM_RSRC2:USER_SGPR: 8
; COMPUTE_PGM_RSRC2:TRAP_HANDLER: 0
; COMPUTE_PGM_RSRC2:TGID_X_EN: 1
; COMPUTE_PGM_RSRC2:TGID_Y_EN: 0
; COMPUTE_PGM_RSRC2:TGID_Z_EN: 0
; COMPUTE_PGM_RSRC2:TIDIG_COMP_CNT: 0
; COMPUTE_PGM_RSRC3_GFX90A:ACCUM_OFFSET: 7
; COMPUTE_PGM_RSRC3_GFX90A:TG_SPLIT: 0
	.section	.text._ZN2at6native32elementwise_kernel_manual_unrollILi128ELi4EZNS0_22gpu_kernel_impl_nocastIZZZNS0_12_GLOBAL__N_130modified_bessel_i0_kernel_cudaERNS_18TensorIteratorBaseEENKUlvE_clEvENKUlvE0_clEvEUlfE_EEvS5_RKT_EUlibE_EEviT1_,"axG",@progbits,_ZN2at6native32elementwise_kernel_manual_unrollILi128ELi4EZNS0_22gpu_kernel_impl_nocastIZZZNS0_12_GLOBAL__N_130modified_bessel_i0_kernel_cudaERNS_18TensorIteratorBaseEENKUlvE_clEvENKUlvE0_clEvEUlfE_EEvS5_RKT_EUlibE_EEviT1_,comdat
	.globl	_ZN2at6native32elementwise_kernel_manual_unrollILi128ELi4EZNS0_22gpu_kernel_impl_nocastIZZZNS0_12_GLOBAL__N_130modified_bessel_i0_kernel_cudaERNS_18TensorIteratorBaseEENKUlvE_clEvENKUlvE0_clEvEUlfE_EEvS5_RKT_EUlibE_EEviT1_ ; -- Begin function _ZN2at6native32elementwise_kernel_manual_unrollILi128ELi4EZNS0_22gpu_kernel_impl_nocastIZZZNS0_12_GLOBAL__N_130modified_bessel_i0_kernel_cudaERNS_18TensorIteratorBaseEENKUlvE_clEvENKUlvE0_clEvEUlfE_EEvS5_RKT_EUlibE_EEviT1_
	.p2align	8
	.type	_ZN2at6native32elementwise_kernel_manual_unrollILi128ELi4EZNS0_22gpu_kernel_impl_nocastIZZZNS0_12_GLOBAL__N_130modified_bessel_i0_kernel_cudaERNS_18TensorIteratorBaseEENKUlvE_clEvENKUlvE0_clEvEUlfE_EEvS5_RKT_EUlibE_EEviT1_,@function
_ZN2at6native32elementwise_kernel_manual_unrollILi128ELi4EZNS0_22gpu_kernel_impl_nocastIZZZNS0_12_GLOBAL__N_130modified_bessel_i0_kernel_cudaERNS_18TensorIteratorBaseEENKUlvE_clEvENKUlvE0_clEvEUlfE_EEvS5_RKT_EUlibE_EEviT1_: ; @_ZN2at6native32elementwise_kernel_manual_unrollILi128ELi4EZNS0_22gpu_kernel_impl_nocastIZZZNS0_12_GLOBAL__N_130modified_bessel_i0_kernel_cudaERNS_18TensorIteratorBaseEENKUlvE_clEvENKUlvE0_clEvEUlfE_EEvS5_RKT_EUlibE_EEviT1_
; %bb.0:
	s_load_dword s57, s[4:5], 0x0
	s_load_dword s33, s[4:5], 0x8
	s_or_b32 s4, s4, 8
	v_lshl_or_b32 v4, s6, 9, v0
	v_or_b32_e32 v15, 0x180, v4
	s_waitcnt lgkmcnt(0)
	v_cmp_le_i32_e32 vcc, s57, v15
	s_add_i32 s56, s33, -1
	s_cmp_gt_u32 s56, 1
	s_cselect_b64 s[6:7], -1, 0
	s_and_saveexec_b64 s[0:1], vcc
	s_xor_b64 s[34:35], exec, s[0:1]
	s_cbranch_execz .LBB16_8
; %bb.1:
	s_load_dwordx4 s[36:39], s[4:5], 0x4
	s_load_dwordx2 s[40:41], s[4:5], 0x14
	s_load_dwordx4 s[28:31], s[4:5], 0xc4
	s_load_dwordx4 s[24:27], s[4:5], 0x148
	s_cmp_lg_u32 s33, 0
	s_cselect_b64 s[46:47], -1, 0
	s_add_u32 s44, s4, 0xc4
	s_addc_u32 s45, s5, 0
	s_min_u32 s58, s56, 15
	s_cmp_gt_u32 s33, 1
	s_cselect_b64 s[42:43], -1, 0
	v_cmp_gt_i32_e32 vcc, s57, v4
	s_and_saveexec_b64 s[48:49], vcc
	s_cbranch_execz .LBB16_16
; %bb.2:
	s_andn2_b64 vcc, exec, s[6:7]
	s_cbranch_vccnz .LBB16_24
; %bb.3:
	s_mov_b32 s50, 0
	s_andn2_b64 vcc, exec, s[46:47]
	v_mov_b32_e32 v2, 0
	v_mov_b32_e32 v0, 0
	s_cbranch_vccnz .LBB16_96
; %bb.4:
	s_add_i32 s59, s58, 1
	s_cmp_eq_u32 s56, 2
	s_cbranch_scc1 .LBB16_91
; %bb.5:
	s_and_b32 s50, s59, 28
	s_mov_b32 s51, 0
	v_mov_b32_e32 v0, 0
	s_mov_b64 s[52:53], s[4:5]
	s_mov_b64 s[54:55], s[44:45]
	v_mov_b32_e32 v3, v4
	v_mov_b32_e32 v2, 0
.LBB16_6:                               ; =>This Inner Loop Header: Depth=1
	s_load_dwordx8 s[16:23], s[52:53], 0x4
	s_load_dwordx4 s[0:3], s[52:53], 0x24
	s_load_dwordx8 s[8:15], s[54:55], 0x0
	s_add_u32 s52, s52, 48
	s_addc_u32 s53, s53, 0
	s_waitcnt lgkmcnt(0)
	v_mul_hi_u32 v1, s17, v3
	v_add_u32_e32 v1, v3, v1
	v_lshrrev_b32_e32 v1, s18, v1
	v_mul_lo_u32 v5, v1, s16
	v_mul_hi_u32 v6, s20, v1
	v_sub_u32_e32 v3, v3, v5
	v_add_u32_e32 v5, v1, v6
	v_lshrrev_b32_e32 v5, s21, v5
	v_mul_lo_u32 v7, v5, s19
	v_mul_hi_u32 v8, s23, v5
	v_sub_u32_e32 v1, v1, v7
	v_add_u32_e32 v7, v5, v8
	v_mul_lo_u32 v6, v3, s9
	v_mul_lo_u32 v3, v3, s8
	;; [unrolled: 1-line block ×4, first 2 shown]
	v_lshrrev_b32_e32 v7, s0, v7
	v_add3_u32 v0, v3, v0, v1
	v_mul_hi_u32 v3, s2, v7
	v_add_u32_e32 v3, v7, v3
	v_lshrrev_b32_e32 v3, s3, v3
	s_add_i32 s51, s51, 4
	v_add3_u32 v1, v6, v2, v8
	v_mul_lo_u32 v2, v7, s22
	v_mul_lo_u32 v6, v3, s1
	s_add_u32 s54, s54, 32
	v_sub_u32_e32 v2, v5, v2
	v_sub_u32_e32 v6, v7, v6
	s_addc_u32 s55, s55, 0
	v_mul_lo_u32 v5, v2, s12
	v_mul_lo_u32 v2, v2, s13
	;; [unrolled: 1-line block ×4, first 2 shown]
	s_cmp_lg_u32 s50, s51
	v_add3_u32 v2, v2, v1, v6
	v_add3_u32 v0, v5, v0, v7
	s_cbranch_scc1 .LBB16_6
; %bb.7:
	v_mov_b32_e32 v1, v2
	s_branch .LBB16_92
.LBB16_8:
	s_andn2_saveexec_b64 s[0:1], s[34:35]
	s_cbranch_execz .LBB16_127
.LBB16_9:
	v_cndmask_b32_e64 v0, 0, 1, s[6:7]
	v_cmp_ne_u32_e64 s[0:1], 1, v0
	s_andn2_b64 vcc, exec, s[6:7]
	s_cbranch_vccnz .LBB16_23
; %bb.10:
	s_mov_b32 s2, 0
	s_cmp_lg_u32 s33, 0
	v_mov_b32_e32 v8, 0
	v_mov_b32_e32 v0, 0
	s_cbranch_scc0 .LBB16_15
; %bb.11:
	s_waitcnt lgkmcnt(0)
	s_min_u32 s30, s56, 15
	s_add_i32 s30, s30, 1
	s_cmp_eq_u32 s56, 2
	s_cbranch_scc1 .LBB16_26
; %bb.12:
	s_add_u32 s6, s4, 0xc4
	s_addc_u32 s7, s5, 0
	s_and_b32 s2, s30, 28
	s_mov_b32 s3, 0
	v_mov_b32_e32 v0, 0
	s_mov_b64 s[28:29], s[4:5]
	v_mov_b32_e32 v2, v4
	v_mov_b32_e32 v8, 0
.LBB16_13:                              ; =>This Inner Loop Header: Depth=1
	s_load_dwordx8 s[16:23], s[28:29], 0x4
	s_load_dwordx4 s[24:27], s[28:29], 0x24
	s_load_dwordx8 s[8:15], s[6:7], 0x0
	s_add_u32 s28, s28, 48
	s_addc_u32 s29, s29, 0
	s_waitcnt lgkmcnt(0)
	v_mul_hi_u32 v1, s17, v2
	v_add_u32_e32 v1, v2, v1
	v_lshrrev_b32_e32 v1, s18, v1
	v_mul_lo_u32 v3, v1, s16
	v_mul_hi_u32 v5, s20, v1
	v_sub_u32_e32 v2, v2, v3
	v_add_u32_e32 v3, v1, v5
	v_lshrrev_b32_e32 v3, s21, v3
	v_mul_lo_u32 v6, v3, s19
	v_mul_hi_u32 v7, s23, v3
	v_sub_u32_e32 v1, v1, v6
	v_add_u32_e32 v6, v3, v7
	v_mul_lo_u32 v5, v2, s9
	v_mul_lo_u32 v2, v2, s8
	;; [unrolled: 1-line block ×4, first 2 shown]
	v_lshrrev_b32_e32 v6, s24, v6
	v_add3_u32 v0, v2, v0, v1
	v_add3_u32 v1, v5, v8, v7
	v_mul_lo_u32 v2, v6, s22
	v_mul_hi_u32 v5, s26, v6
	v_sub_u32_e32 v2, v3, v2
	v_add_u32_e32 v3, v6, v5
	v_mul_lo_u32 v5, v2, s12
	v_mul_lo_u32 v7, v2, s13
	v_lshrrev_b32_e32 v2, s27, v3
	s_add_i32 s3, s3, 4
	v_mul_lo_u32 v3, v2, s25
	s_add_u32 s6, s6, 32
	v_sub_u32_e32 v3, v6, v3
	s_addc_u32 s7, s7, 0
	v_mul_lo_u32 v6, v3, s14
	v_mul_lo_u32 v3, v3, s15
	s_cmp_lg_u32 s2, s3
	v_add3_u32 v8, v7, v1, v3
	v_add3_u32 v0, v5, v0, v6
	s_cbranch_scc1 .LBB16_13
; %bb.14:
	v_mov_b32_e32 v1, v8
	s_and_b32 s8, s30, 3
	s_cmp_eq_u32 s8, 0
	s_cbranch_scc0 .LBB16_27
.LBB16_15:
	s_cbranch_execz .LBB16_30
	s_branch .LBB16_32
.LBB16_16:
	s_or_b64 exec, exec, s[48:49]
	v_cmp_gt_i32_e32 vcc, s57, v4
	s_and_saveexec_b64 s[48:49], vcc
	s_cbranch_execz .LBB16_104
.LBB16_17:
	s_andn2_b64 vcc, exec, s[6:7]
	s_cbranch_vccnz .LBB16_25
; %bb.18:
	s_mov_b32 s50, 0
	s_andn2_b64 vcc, exec, s[46:47]
	v_mov_b32_e32 v2, 0
	v_mov_b32_e32 v0, 0
	s_cbranch_vccnz .LBB16_117
; %bb.19:
	s_add_i32 s59, s58, 1
	s_cmp_eq_u32 s56, 2
	s_cbranch_scc1 .LBB16_112
; %bb.20:
	s_and_b32 s50, s59, 28
	s_mov_b32 s51, 0
	v_mov_b32_e32 v0, 0
	s_mov_b64 s[52:53], s[4:5]
	s_mov_b64 s[54:55], s[44:45]
	v_mov_b32_e32 v3, v4
	v_mov_b32_e32 v2, 0
.LBB16_21:                              ; =>This Inner Loop Header: Depth=1
	s_load_dwordx8 s[16:23], s[52:53], 0x4
	s_load_dwordx4 s[0:3], s[52:53], 0x24
	s_load_dwordx8 s[8:15], s[54:55], 0x0
	s_add_u32 s52, s52, 48
	s_addc_u32 s53, s53, 0
	s_waitcnt lgkmcnt(0)
	v_mul_hi_u32 v1, s17, v3
	v_add_u32_e32 v1, v3, v1
	v_lshrrev_b32_e32 v1, s18, v1
	v_mul_lo_u32 v5, v1, s16
	v_mul_hi_u32 v6, s20, v1
	v_sub_u32_e32 v3, v3, v5
	v_add_u32_e32 v5, v1, v6
	v_lshrrev_b32_e32 v5, s21, v5
	v_mul_lo_u32 v7, v5, s19
	v_mul_hi_u32 v8, s23, v5
	v_sub_u32_e32 v1, v1, v7
	v_add_u32_e32 v7, v5, v8
	v_mul_lo_u32 v6, v3, s9
	v_mul_lo_u32 v3, v3, s8
	;; [unrolled: 1-line block ×4, first 2 shown]
	v_lshrrev_b32_e32 v7, s0, v7
	v_add3_u32 v0, v3, v0, v1
	v_mul_hi_u32 v3, s2, v7
	v_add_u32_e32 v3, v7, v3
	v_lshrrev_b32_e32 v3, s3, v3
	s_add_i32 s51, s51, 4
	v_add3_u32 v1, v6, v2, v8
	v_mul_lo_u32 v2, v7, s22
	v_mul_lo_u32 v6, v3, s1
	s_add_u32 s54, s54, 32
	v_sub_u32_e32 v2, v5, v2
	v_sub_u32_e32 v6, v7, v6
	s_addc_u32 s55, s55, 0
	v_mul_lo_u32 v5, v2, s12
	v_mul_lo_u32 v2, v2, s13
	;; [unrolled: 1-line block ×4, first 2 shown]
	s_cmp_eq_u32 s50, s51
	v_add3_u32 v2, v2, v1, v6
	v_add3_u32 v0, v5, v0, v7
	s_cbranch_scc0 .LBB16_21
; %bb.22:
	v_mov_b32_e32 v1, v2
	s_branch .LBB16_113
.LBB16_23:
                                        ; implicit-def: $vgpr8
                                        ; implicit-def: $vgpr0
	s_branch .LBB16_30
.LBB16_24:
                                        ; implicit-def: $vgpr2
                                        ; implicit-def: $vgpr0
	s_branch .LBB16_97
.LBB16_25:
                                        ; implicit-def: $vgpr2
                                        ; implicit-def: $vgpr0
	s_branch .LBB16_118
.LBB16_26:
	s_mov_b32 s3, s2
	v_pk_mov_b32 v[0:1], s[2:3], s[2:3] op_sel:[0,1]
                                        ; implicit-def: $vgpr8
	v_mov_b32_e32 v2, v4
	s_and_b32 s8, s30, 3
	s_cmp_eq_u32 s8, 0
	s_cbranch_scc1 .LBB16_15
.LBB16_27:
	s_lshl_b32 s3, s2, 3
	s_add_u32 s3, s3, s4
	s_addc_u32 s7, 0, s5
	s_add_u32 s6, s3, 0xc4
	s_addc_u32 s7, s7, 0
	s_mul_i32 s2, s2, 12
	s_add_u32 s2, s4, s2
	s_addc_u32 s3, 0, s5
.LBB16_28:                              ; =>This Inner Loop Header: Depth=1
	s_load_dwordx2 s[10:11], s[2:3], 0x4
	s_load_dword s9, s[2:3], 0xc
	s_load_dwordx2 s[12:13], s[6:7], 0x0
	v_mov_b32_e32 v6, v1
	s_add_u32 s2, s2, 12
	s_waitcnt lgkmcnt(0)
	v_mul_hi_u32 v1, s11, v2
	v_add_u32_e32 v1, v2, v1
	v_lshrrev_b32_e32 v1, s9, v1
	s_addc_u32 s3, s3, 0
	v_mul_lo_u32 v3, v1, s10
	s_add_u32 s6, s6, 8
	v_sub_u32_e32 v3, v2, v3
	s_addc_u32 s7, s7, 0
	s_add_i32 s8, s8, -1
	v_mov_b32_e32 v2, v1
	v_mad_u64_u32 v[6:7], s[10:11], v3, s13, v[6:7]
	v_mad_u64_u32 v[0:1], s[10:11], v3, s12, v[0:1]
	s_cmp_lg_u32 s8, 0
	v_mov_b32_e32 v1, v6
	s_cbranch_scc1 .LBB16_28
; %bb.29:
	v_mov_b32_e32 v8, v1
	s_cbranch_execnz .LBB16_32
.LBB16_30:
	s_load_dwordx4 s[8:11], s[4:5], 0x4
	s_load_dwordx2 s[2:3], s[4:5], 0xc4
	s_cmp_lt_u32 s33, 2
	s_waitcnt lgkmcnt(0)
	v_mul_hi_u32 v0, s9, v4
	v_add_u32_e32 v0, v4, v0
	v_lshrrev_b32_e32 v1, s10, v0
	v_mul_lo_u32 v0, v1, s8
	v_sub_u32_e32 v0, v4, v0
	v_mul_lo_u32 v8, v0, s3
	v_mul_lo_u32 v0, v0, s2
	s_cbranch_scc1 .LBB16_32
; %bb.31:
	s_load_dwordx4 s[8:11], s[4:5], 0x10
	s_load_dwordx2 s[2:3], s[4:5], 0xcc
	s_waitcnt lgkmcnt(0)
	v_mul_hi_u32 v2, s9, v1
	v_add_u32_e32 v2, v1, v2
	v_lshrrev_b32_e32 v2, s10, v2
	v_mul_lo_u32 v2, v2, s8
	v_sub_u32_e32 v2, v1, v2
	v_mad_u64_u32 v[0:1], s[6:7], v2, s2, v[0:1]
	v_mad_u64_u32 v[8:9], s[2:3], v2, s3, v[8:9]
.LBB16_32:
	s_and_b64 vcc, exec, s[0:1]
	v_add_u32_e32 v1, 0x80, v4
	s_cbranch_vccnz .LBB16_39
; %bb.33:
	s_mov_b32 s2, 0
	s_cmp_lg_u32 s33, 0
	v_mov_b32_e32 v10, 0
	v_mov_b32_e32 v2, 0
	s_cbranch_scc0 .LBB16_38
; %bb.34:
	s_waitcnt lgkmcnt(0)
	s_min_u32 s30, s56, 15
	s_add_i32 s30, s30, 1
	s_cmp_eq_u32 s56, 2
	s_cbranch_scc1 .LBB16_40
; %bb.35:
	s_add_u32 s6, s4, 0xc4
	s_addc_u32 s7, s5, 0
	s_and_b32 s2, s30, 28
	s_mov_b32 s3, 0
	v_mov_b32_e32 v2, 0
	s_mov_b64 s[28:29], s[4:5]
	v_mov_b32_e32 v5, v1
	v_mov_b32_e32 v10, 0
.LBB16_36:                              ; =>This Inner Loop Header: Depth=1
	s_load_dwordx8 s[16:23], s[28:29], 0x4
	s_load_dwordx4 s[24:27], s[28:29], 0x24
	s_load_dwordx8 s[8:15], s[6:7], 0x0
	s_add_u32 s28, s28, 48
	s_addc_u32 s29, s29, 0
	s_waitcnt lgkmcnt(0)
	v_mul_hi_u32 v3, s17, v5
	v_add_u32_e32 v3, v5, v3
	v_lshrrev_b32_e32 v3, s18, v3
	v_mul_lo_u32 v6, v3, s16
	v_mul_hi_u32 v7, s20, v3
	v_sub_u32_e32 v5, v5, v6
	v_add_u32_e32 v6, v3, v7
	v_lshrrev_b32_e32 v6, s21, v6
	v_mul_lo_u32 v9, v6, s19
	v_mul_hi_u32 v11, s23, v6
	v_sub_u32_e32 v3, v3, v9
	v_add_u32_e32 v9, v6, v11
	v_mul_lo_u32 v7, v5, s9
	v_mul_lo_u32 v5, v5, s8
	v_mul_lo_u32 v11, v3, s11
	v_mul_lo_u32 v3, v3, s10
	v_lshrrev_b32_e32 v9, s24, v9
	v_add3_u32 v2, v5, v2, v3
	v_add3_u32 v3, v7, v10, v11
	v_mul_lo_u32 v5, v9, s22
	v_mul_hi_u32 v7, s26, v9
	v_sub_u32_e32 v5, v6, v5
	v_add_u32_e32 v6, v9, v7
	v_mul_lo_u32 v7, v5, s12
	v_mul_lo_u32 v10, v5, s13
	v_lshrrev_b32_e32 v5, s27, v6
	s_add_i32 s3, s3, 4
	v_mul_lo_u32 v6, v5, s25
	s_add_u32 s6, s6, 32
	v_sub_u32_e32 v6, v9, v6
	s_addc_u32 s7, s7, 0
	v_mul_lo_u32 v9, v6, s14
	v_mul_lo_u32 v6, v6, s15
	s_cmp_lg_u32 s2, s3
	v_add3_u32 v10, v10, v3, v6
	v_add3_u32 v2, v7, v2, v9
	s_cbranch_scc1 .LBB16_36
; %bb.37:
	v_mov_b32_e32 v3, v10
	s_and_b32 s8, s30, 3
	s_cmp_eq_u32 s8, 0
	s_cbranch_scc0 .LBB16_41
.LBB16_38:
	s_cbranch_execz .LBB16_44
	s_branch .LBB16_46
.LBB16_39:
                                        ; implicit-def: $vgpr10
                                        ; implicit-def: $vgpr2
	s_branch .LBB16_44
.LBB16_40:
	s_mov_b32 s3, s2
	v_pk_mov_b32 v[2:3], s[2:3], s[2:3] op_sel:[0,1]
                                        ; implicit-def: $vgpr10
	v_mov_b32_e32 v5, v1
	s_and_b32 s8, s30, 3
	s_cmp_eq_u32 s8, 0
	s_cbranch_scc1 .LBB16_38
.LBB16_41:
	s_lshl_b32 s3, s2, 3
	s_add_u32 s3, s3, s4
	s_addc_u32 s7, 0, s5
	s_add_u32 s6, s3, 0xc4
	s_addc_u32 s7, s7, 0
	s_mul_i32 s2, s2, 12
	s_add_u32 s2, s4, s2
	s_addc_u32 s3, 0, s5
.LBB16_42:                              ; =>This Inner Loop Header: Depth=1
	s_load_dwordx2 s[10:11], s[2:3], 0x4
	s_load_dword s9, s[2:3], 0xc
	s_load_dwordx2 s[12:13], s[6:7], 0x0
	v_mov_b32_e32 v6, v3
	s_add_u32 s2, s2, 12
	s_waitcnt lgkmcnt(0)
	v_mul_hi_u32 v3, s11, v5
	v_add_u32_e32 v3, v5, v3
	v_lshrrev_b32_e32 v3, s9, v3
	s_addc_u32 s3, s3, 0
	v_mul_lo_u32 v7, v3, s10
	s_add_u32 s6, s6, 8
	v_sub_u32_e32 v9, v5, v7
	s_addc_u32 s7, s7, 0
	s_add_i32 s8, s8, -1
	v_mov_b32_e32 v5, v3
	v_mad_u64_u32 v[6:7], s[10:11], v9, s13, v[6:7]
	v_mad_u64_u32 v[2:3], s[10:11], v9, s12, v[2:3]
	s_cmp_lg_u32 s8, 0
	v_mov_b32_e32 v3, v6
	s_cbranch_scc1 .LBB16_42
; %bb.43:
	v_mov_b32_e32 v10, v3
	s_cbranch_execnz .LBB16_46
.LBB16_44:
	s_load_dwordx4 s[8:11], s[4:5], 0x4
	s_load_dwordx2 s[2:3], s[4:5], 0xc4
	s_cmp_lt_u32 s33, 2
	s_waitcnt lgkmcnt(0)
	v_mul_hi_u32 v2, s9, v1
	v_add_u32_e32 v2, v1, v2
	v_lshrrev_b32_e32 v3, s10, v2
	v_mul_lo_u32 v2, v3, s8
	v_sub_u32_e32 v1, v1, v2
	v_mul_lo_u32 v10, v1, s3
	v_mul_lo_u32 v2, v1, s2
	s_cbranch_scc1 .LBB16_46
; %bb.45:
	s_load_dwordx4 s[8:11], s[4:5], 0x10
	s_load_dwordx2 s[2:3], s[4:5], 0xcc
	s_waitcnt lgkmcnt(0)
	v_mul_hi_u32 v1, s9, v3
	v_add_u32_e32 v1, v3, v1
	v_lshrrev_b32_e32 v1, s10, v1
	v_mul_lo_u32 v1, v1, s8
	v_sub_u32_e32 v1, v3, v1
	v_mad_u64_u32 v[2:3], s[6:7], v1, s2, v[2:3]
	v_mad_u64_u32 v[10:11], s[2:3], v1, s3, v[10:11]
.LBB16_46:
	s_and_b64 vcc, exec, s[0:1]
	v_add_u32_e32 v1, 0x100, v4
	s_cbranch_vccnz .LBB16_53
; %bb.47:
	s_mov_b32 s2, 0
	s_cmp_lg_u32 s33, 0
	v_mov_b32_e32 v12, 0
	v_mov_b32_e32 v4, 0
	s_cbranch_scc0 .LBB16_52
; %bb.48:
	s_waitcnt lgkmcnt(0)
	s_min_u32 s30, s56, 15
	s_add_i32 s30, s30, 1
	s_cmp_eq_u32 s56, 2
	s_cbranch_scc1 .LBB16_54
; %bb.49:
	s_add_u32 s6, s4, 0xc4
	s_addc_u32 s7, s5, 0
	s_and_b32 s2, s30, 28
	s_mov_b32 s3, 0
	v_mov_b32_e32 v4, 0
	s_mov_b64 s[28:29], s[4:5]
	v_mov_b32_e32 v3, v1
	v_mov_b32_e32 v12, 0
.LBB16_50:                              ; =>This Inner Loop Header: Depth=1
	s_load_dwordx8 s[16:23], s[28:29], 0x4
	s_load_dwordx4 s[24:27], s[28:29], 0x24
	s_load_dwordx8 s[8:15], s[6:7], 0x0
	s_add_u32 s28, s28, 48
	s_addc_u32 s29, s29, 0
	s_waitcnt lgkmcnt(0)
	v_mul_hi_u32 v5, s17, v3
	v_add_u32_e32 v5, v3, v5
	v_lshrrev_b32_e32 v5, s18, v5
	v_mul_lo_u32 v6, v5, s16
	v_mul_hi_u32 v7, s20, v5
	v_sub_u32_e32 v3, v3, v6
	v_add_u32_e32 v6, v5, v7
	v_lshrrev_b32_e32 v6, s21, v6
	v_mul_lo_u32 v9, v6, s19
	v_mul_hi_u32 v11, s23, v6
	v_sub_u32_e32 v5, v5, v9
	v_add_u32_e32 v9, v6, v11
	v_mul_lo_u32 v7, v3, s9
	v_mul_lo_u32 v3, v3, s8
	;; [unrolled: 1-line block ×4, first 2 shown]
	v_lshrrev_b32_e32 v9, s24, v9
	v_add3_u32 v4, v3, v4, v5
	v_add3_u32 v5, v7, v12, v11
	v_mul_lo_u32 v3, v9, s22
	v_mul_hi_u32 v7, s26, v9
	v_sub_u32_e32 v3, v6, v3
	v_add_u32_e32 v6, v9, v7
	v_mul_lo_u32 v7, v3, s12
	v_mul_lo_u32 v11, v3, s13
	v_lshrrev_b32_e32 v3, s27, v6
	s_add_i32 s3, s3, 4
	v_mul_lo_u32 v6, v3, s25
	s_add_u32 s6, s6, 32
	v_sub_u32_e32 v6, v9, v6
	s_addc_u32 s7, s7, 0
	v_mul_lo_u32 v9, v6, s14
	v_mul_lo_u32 v6, v6, s15
	s_cmp_lg_u32 s2, s3
	v_add3_u32 v12, v11, v5, v6
	v_add3_u32 v4, v7, v4, v9
	s_cbranch_scc1 .LBB16_50
; %bb.51:
	v_mov_b32_e32 v5, v12
	s_and_b32 s8, s30, 3
	s_cmp_eq_u32 s8, 0
	s_cbranch_scc0 .LBB16_55
.LBB16_52:
	s_cbranch_execz .LBB16_58
	s_branch .LBB16_60
.LBB16_53:
                                        ; implicit-def: $vgpr12
                                        ; implicit-def: $vgpr4
	s_branch .LBB16_58
.LBB16_54:
	s_mov_b32 s3, s2
	v_pk_mov_b32 v[4:5], s[2:3], s[2:3] op_sel:[0,1]
                                        ; implicit-def: $vgpr12
	v_mov_b32_e32 v3, v1
	s_and_b32 s8, s30, 3
	s_cmp_eq_u32 s8, 0
	s_cbranch_scc1 .LBB16_52
.LBB16_55:
	s_lshl_b32 s3, s2, 3
	s_add_u32 s3, s3, s4
	s_addc_u32 s7, 0, s5
	s_add_u32 s6, s3, 0xc4
	s_addc_u32 s7, s7, 0
	s_mul_i32 s2, s2, 12
	s_add_u32 s2, s4, s2
	s_addc_u32 s3, 0, s5
.LBB16_56:                              ; =>This Inner Loop Header: Depth=1
	s_load_dwordx2 s[10:11], s[2:3], 0x4
	s_load_dword s9, s[2:3], 0xc
	s_load_dwordx2 s[12:13], s[6:7], 0x0
	v_mov_b32_e32 v6, v5
	s_add_u32 s2, s2, 12
	s_waitcnt lgkmcnt(0)
	v_mul_hi_u32 v5, s11, v3
	v_add_u32_e32 v5, v3, v5
	v_lshrrev_b32_e32 v5, s9, v5
	s_addc_u32 s3, s3, 0
	v_mul_lo_u32 v7, v5, s10
	s_add_u32 s6, s6, 8
	v_sub_u32_e32 v9, v3, v7
	s_addc_u32 s7, s7, 0
	s_add_i32 s8, s8, -1
	v_mov_b32_e32 v3, v5
	v_mad_u64_u32 v[6:7], s[10:11], v9, s13, v[6:7]
	v_mad_u64_u32 v[4:5], s[10:11], v9, s12, v[4:5]
	s_cmp_lg_u32 s8, 0
	v_mov_b32_e32 v5, v6
	s_cbranch_scc1 .LBB16_56
; %bb.57:
	v_mov_b32_e32 v12, v5
	s_cbranch_execnz .LBB16_60
.LBB16_58:
	s_load_dwordx4 s[8:11], s[4:5], 0x4
	s_load_dwordx2 s[2:3], s[4:5], 0xc4
	s_cmp_lt_u32 s33, 2
	s_waitcnt lgkmcnt(0)
	v_mul_hi_u32 v3, s9, v1
	v_add_u32_e32 v3, v1, v3
	v_lshrrev_b32_e32 v3, s10, v3
	v_mul_lo_u32 v4, v3, s8
	v_sub_u32_e32 v1, v1, v4
	v_mul_lo_u32 v12, v1, s3
	v_mul_lo_u32 v4, v1, s2
	s_cbranch_scc1 .LBB16_60
; %bb.59:
	s_load_dwordx4 s[8:11], s[4:5], 0x10
	s_load_dwordx2 s[2:3], s[4:5], 0xcc
	s_waitcnt lgkmcnt(0)
	v_mul_hi_u32 v1, s9, v3
	v_add_u32_e32 v1, v3, v1
	v_lshrrev_b32_e32 v1, s10, v1
	v_mul_lo_u32 v1, v1, s8
	v_sub_u32_e32 v1, v3, v1
	v_mad_u64_u32 v[4:5], s[6:7], v1, s2, v[4:5]
	v_mad_u64_u32 v[12:13], s[2:3], v1, s3, v[12:13]
.LBB16_60:
	s_and_b64 vcc, exec, s[0:1]
	s_cbranch_vccnz .LBB16_67
; %bb.61:
	s_mov_b32 s6, 0
	s_cmp_lg_u32 s33, 0
	v_mov_b32_e32 v14, 0
	v_mov_b32_e32 v6, 0
	s_cbranch_scc0 .LBB16_66
; %bb.62:
	s_waitcnt lgkmcnt(0)
	s_min_u32 s28, s56, 15
	s_add_i32 s28, s28, 1
	s_cmp_eq_u32 s56, 2
	s_cbranch_scc1 .LBB16_68
; %bb.63:
	s_add_u32 s24, s4, 0xc4
	s_addc_u32 s25, s5, 0
	s_and_b32 s6, s28, 28
	s_mov_b32 s7, 0
	v_mov_b32_e32 v6, 0
	s_mov_b64 s[26:27], s[4:5]
	v_mov_b32_e32 v1, v15
	v_mov_b32_e32 v14, 0
.LBB16_64:                              ; =>This Inner Loop Header: Depth=1
	s_load_dwordx8 s[16:23], s[26:27], 0x4
	s_load_dwordx4 s[0:3], s[26:27], 0x24
	s_load_dwordx8 s[8:15], s[24:25], 0x0
	s_add_u32 s26, s26, 48
	s_addc_u32 s27, s27, 0
	s_waitcnt lgkmcnt(0)
	v_mul_hi_u32 v3, s17, v1
	v_add_u32_e32 v3, v1, v3
	v_lshrrev_b32_e32 v3, s18, v3
	v_mul_lo_u32 v5, v3, s16
	v_mul_hi_u32 v7, s20, v3
	v_sub_u32_e32 v1, v1, v5
	v_add_u32_e32 v5, v3, v7
	v_lshrrev_b32_e32 v5, s21, v5
	v_mul_lo_u32 v9, v5, s19
	v_mul_hi_u32 v11, s23, v5
	v_sub_u32_e32 v3, v3, v9
	v_add_u32_e32 v9, v5, v11
	v_mul_lo_u32 v7, v1, s9
	v_mul_lo_u32 v1, v1, s8
	;; [unrolled: 1-line block ×4, first 2 shown]
	v_lshrrev_b32_e32 v9, s0, v9
	v_add3_u32 v3, v1, v6, v3
	v_add3_u32 v6, v7, v14, v11
	v_mul_lo_u32 v1, v9, s22
	v_mul_hi_u32 v7, s2, v9
	v_sub_u32_e32 v1, v5, v1
	v_add_u32_e32 v5, v9, v7
	v_mul_lo_u32 v7, v1, s12
	v_mul_lo_u32 v11, v1, s13
	v_lshrrev_b32_e32 v1, s3, v5
	s_add_i32 s7, s7, 4
	v_mul_lo_u32 v5, v1, s1
	s_add_u32 s24, s24, 32
	v_sub_u32_e32 v5, v9, v5
	s_addc_u32 s25, s25, 0
	v_mul_lo_u32 v9, v5, s14
	v_mul_lo_u32 v5, v5, s15
	s_cmp_lg_u32 s6, s7
	v_add3_u32 v14, v11, v6, v5
	v_add3_u32 v6, v7, v3, v9
	s_cbranch_scc1 .LBB16_64
; %bb.65:
	v_mov_b32_e32 v7, v14
	s_and_b32 s7, s28, 3
	s_cmp_eq_u32 s7, 0
	s_cbranch_scc0 .LBB16_69
.LBB16_66:
	s_cbranch_execz .LBB16_72
	s_branch .LBB16_74
.LBB16_67:
                                        ; implicit-def: $vgpr14
                                        ; implicit-def: $vgpr6
	s_branch .LBB16_72
.LBB16_68:
	s_mov_b32 s7, s6
	v_pk_mov_b32 v[6:7], s[6:7], s[6:7] op_sel:[0,1]
                                        ; implicit-def: $vgpr14
	v_mov_b32_e32 v1, v15
	s_and_b32 s7, s28, 3
	s_cmp_eq_u32 s7, 0
	s_cbranch_scc1 .LBB16_66
.LBB16_69:
	s_lshl_b32 s0, s6, 3
	s_add_u32 s0, s0, s4
	s_addc_u32 s1, 0, s5
	s_add_u32 s0, s0, 0xc4
	s_addc_u32 s1, s1, 0
	s_mul_i32 s2, s6, 12
	s_add_u32 s2, s4, s2
	s_addc_u32 s3, 0, s5
.LBB16_70:                              ; =>This Inner Loop Header: Depth=1
	s_load_dwordx2 s[8:9], s[2:3], 0x4
	s_load_dword s6, s[2:3], 0xc
	s_load_dwordx2 s[10:11], s[0:1], 0x0
	s_add_u32 s2, s2, 12
	s_addc_u32 s3, s3, 0
	s_waitcnt lgkmcnt(0)
	v_mul_hi_u32 v3, s9, v1
	v_add_u32_e32 v3, v1, v3
	v_lshrrev_b32_e32 v3, s6, v3
	v_mul_lo_u32 v5, v3, s8
	v_mov_b32_e32 v14, v7
	s_add_u32 s0, s0, 8
	v_sub_u32_e32 v5, v1, v5
	s_addc_u32 s1, s1, 0
	s_add_i32 s7, s7, -1
	v_mad_u64_u32 v[16:17], s[8:9], v5, s11, v[14:15]
	v_mad_u64_u32 v[6:7], s[8:9], v5, s10, v[6:7]
	s_cmp_lg_u32 s7, 0
	v_mov_b32_e32 v1, v3
	v_mov_b32_e32 v7, v16
	s_cbranch_scc1 .LBB16_70
; %bb.71:
	v_mov_b32_e32 v14, v7
	s_cbranch_execnz .LBB16_74
.LBB16_72:
	s_load_dwordx4 s[0:3], s[4:5], 0x4
	s_load_dwordx2 s[6:7], s[4:5], 0xc4
	s_cmp_lt_u32 s33, 2
	s_waitcnt lgkmcnt(0)
	v_mul_hi_u32 v1, s1, v15
	v_add_u32_e32 v1, v15, v1
	v_lshrrev_b32_e32 v1, s2, v1
	v_mul_lo_u32 v3, v1, s0
	v_sub_u32_e32 v3, v15, v3
	v_mul_lo_u32 v14, v3, s7
	v_mul_lo_u32 v6, v3, s6
	s_cbranch_scc1 .LBB16_74
; %bb.73:
	s_load_dwordx4 s[0:3], s[4:5], 0x10
	s_load_dwordx2 s[6:7], s[4:5], 0xcc
	s_waitcnt lgkmcnt(0)
	v_mul_hi_u32 v3, s1, v1
	v_add_u32_e32 v3, v1, v3
	v_lshrrev_b32_e32 v3, s2, v3
	v_mul_lo_u32 v3, v3, s0
	v_sub_u32_e32 v1, v1, v3
	v_mad_u64_u32 v[6:7], s[0:1], v1, s6, v[6:7]
	v_mad_u64_u32 v[14:15], s[0:1], v1, s7, v[14:15]
.LBB16_74:
	s_load_dwordx4 s[4:7], s[4:5], 0x148
	s_mov_b32 s0, 0x41000000
                                        ; implicit-def: $vgpr1
	s_waitcnt lgkmcnt(0)
	global_load_dword v3, v8, s[6:7]
	s_waitcnt vmcnt(0)
	v_cmp_le_f32_e64 s[0:1], |v3|, s0
	s_and_saveexec_b64 s[2:3], s[0:1]
	s_xor_b64 s[0:1], exec, s[2:3]
	s_cbranch_execz .LBB16_76
; %bb.75:
	v_fma_f32 v1, |v3|, 0.5, -2.0
	v_mov_b32_e32 v5, 0x24199b15
	v_fmac_f32_e32 v5, 0xa2a2e5b9, v1
	v_mov_b32_e32 v7, 0x22a2e5b9
	v_fmac_f32_e32 v7, v1, v5
	v_add_f32_e32 v7, 0xa58c275c, v7
	v_fma_f32 v5, v1, v7, -v5
	v_add_f32_e32 v5, 0x26f736c5, v5
	v_fma_f32 v7, v1, v5, -v7
	;; [unrolled: 2-line block ×22, first 2 shown]
	v_add_f32_e32 v7, 0xbcc274f8, v7
	s_mov_b32 s2, 0x3fb8aa3b
	v_fma_f32 v5, v1, v7, -v5
	v_mul_f32_e64 v8, |v3|, s2
	v_add_f32_e32 v5, 0x3d49f456, v5
	v_rndne_f32_e32 v9, v8
	v_fma_f32 v7, v1, v5, -v7
	v_sub_f32_e32 v11, v8, v9
	v_fma_f32 v8, |v3|, s2, -v8
	s_mov_b32 s2, 0x32a5705f
	v_add_f32_e32 v7, 0xbdc25b82, v7
	v_fma_f32 v8, |v3|, s2, v8
	v_fma_f32 v5, v1, v7, -v5
	v_add_f32_e32 v8, v11, v8
	v_add_f32_e32 v5, 0x3e2fbd64, v5
	v_exp_f32_e32 v8, v8
	v_cvt_i32_f32_e32 v9, v9
	v_fma_f32 v7, v1, v5, -v7
	v_add_f32_e32 v7, 0xbe9bff5e, v7
	v_fma_f32 v1, v1, v7, -v5
	s_mov_b32 s2, 0xc2ce8ed0
	v_add_f32_e32 v1, 0x3f2d4275, v1
	v_ldexp_f32 v7, v8, v9
	v_cmp_nlt_f32_e64 vcc, |v3|, s2
	s_mov_b32 s2, 0x42b17218
	v_cndmask_b32_e32 v7, 0, v7, vcc
	v_mov_b32_e32 v8, 0x7f800000
	v_cmp_ngt_f32_e64 vcc, |v3|, s2
	v_sub_f32_e32 v1, v1, v5
	v_cndmask_b32_e32 v3, v8, v7, vcc
	v_mul_f32_e32 v1, 0.5, v1
	v_mul_f32_e32 v1, v3, v1
                                        ; implicit-def: $vgpr3
.LBB16_76:
	s_andn2_saveexec_b64 s[2:3], s[0:1]
	s_cbranch_execz .LBB16_78
; %bb.77:
	v_and_b32_e32 v1, 0x7fffffff, v3
	s_mov_b32 s8, 0x42000000
	v_div_scale_f32 v5, s[0:1], v1, v1, s8
	v_rcp_f32_e32 v7, v5
	v_div_scale_f32 v1, vcc, s8, v1, s8
	s_mov_b32 s0, 0x3fb8aa3b
	v_fma_f32 v8, -v5, v7, 1.0
	v_fmac_f32_e32 v7, v8, v7
	v_mul_f32_e32 v8, v1, v7
	v_fma_f32 v9, -v5, v8, v1
	v_fmac_f32_e32 v8, v9, v7
	v_fma_f32 v1, -v5, v8, v1
	v_div_fmas_f32 v1, v1, v7, v8
	v_div_fixup_f32 v1, v1, |v3|, s8
	v_add_f32_e32 v1, -2.0, v1
	v_mov_b32_e32 v5, 0xa2b236d3
	v_fmac_f32_e32 v5, 0xa3056dbb, v1
	v_mov_b32_e32 v7, 0x23056dbb
	v_fmac_f32_e32 v7, v1, v5
	v_add_f32_e32 v7, 0x244df0c1, v7
	v_fma_f32 v5, v1, v7, -v5
	v_add_f32_e32 v5, 0x241f9ee8, v5
	v_fma_f32 v7, v1, v5, -v7
	;; [unrolled: 2-line block ×17, first 2 shown]
	v_add_f32_e32 v5, 0x32c2b494, v5
	v_mul_f32_e64 v8, |v3|, s0
	v_fma_f32 v7, v1, v5, -v7
	v_rndne_f32_e32 v9, v8
	v_add_f32_e32 v7, 0x345c003f, v7
	v_sub_f32_e32 v11, v8, v9
	v_fma_f32 v8, |v3|, s0, -v8
	s_mov_b32 s0, 0x32a5705f
	v_fma_f32 v5, v1, v7, -v5
	v_fma_f32 v8, |v3|, s0, v8
	v_add_f32_e32 v5, 0x3642095e, v5
	v_add_f32_e32 v8, v11, v8
	v_fma_f32 v7, v1, v5, -v7
	v_exp_f32_e32 v8, v8
	v_cvt_i32_f32_e32 v9, v9
	v_add_f32_e32 v7, 0x38907d1c, v7
	v_fma_f32 v5, v1, v7, -v5
	v_add_f32_e32 v5, 0x3b5ccc65, v5
	s_mov_b32 s0, 0xc2ce8ed0
	v_fma_f32 v1, v1, v5, -v7
	v_ldexp_f32 v5, v8, v9
	v_cmp_nlt_f32_e64 vcc, |v3|, s0
	s_mov_b32 s0, 0x42b17218
	v_cndmask_b32_e32 v5, 0, v5, vcc
	v_mov_b32_e32 v8, 0x7f800000
	v_cmp_ngt_f32_e64 vcc, |v3|, s0
	s_mov_b32 s0, 0xf800000
	s_mov_b32 s1, 0x4f800000
	v_cndmask_b32_e32 v5, v8, v5, vcc
	v_mul_f32_e64 v8, |v3|, s1
	v_cmp_lt_f32_e64 vcc, |v3|, s0
	v_cndmask_b32_e64 v3, |v3|, v8, vcc
	v_sqrt_f32_e32 v8, v3
	v_add_f32_e32 v1, 0x3f4df315, v1
	v_sub_f32_e32 v1, v1, v7
	v_mul_f32_e32 v1, 0.5, v1
	v_mul_f32_e32 v1, v5, v1
	v_add_u32_e32 v5, -1, v8
	v_fma_f32 v7, -v5, v8, v3
	v_cmp_ge_f32_e64 s[0:1], 0, v7
	v_add_u32_e32 v7, 1, v8
	v_cndmask_b32_e64 v5, v8, v5, s[0:1]
	v_fma_f32 v8, -v7, v8, v3
	v_cmp_lt_f32_e64 s[0:1], 0, v8
	v_cndmask_b32_e64 v5, v5, v7, s[0:1]
	v_mul_f32_e32 v7, 0x37800000, v5
	v_cndmask_b32_e32 v5, v5, v7, vcc
	v_mov_b32_e32 v7, 0x260
	v_cmp_class_f32_e32 vcc, v3, v7
	v_cndmask_b32_e32 v3, v5, v3, vcc
	v_div_scale_f32 v5, s[0:1], v3, v3, v1
	v_rcp_f32_e32 v7, v5
	v_fma_f32 v8, -v5, v7, 1.0
	v_fmac_f32_e32 v7, v8, v7
	v_div_scale_f32 v8, vcc, v1, v3, v1
	v_mul_f32_e32 v9, v8, v7
	v_fma_f32 v11, -v5, v9, v8
	v_fmac_f32_e32 v9, v11, v7
	v_fma_f32 v5, -v5, v9, v8
	v_div_fmas_f32 v5, v5, v7, v9
	v_div_fixup_f32 v1, v5, v3, v1
.LBB16_78:
	s_or_b64 exec, exec, s[2:3]
	global_load_dword v5, v10, s[6:7]
	s_mov_b32 s0, 0x41000000
                                        ; implicit-def: $vgpr3
	s_waitcnt vmcnt(0)
	v_cmp_le_f32_e64 s[0:1], |v5|, s0
	s_and_saveexec_b64 s[2:3], s[0:1]
	s_xor_b64 s[0:1], exec, s[2:3]
	s_cbranch_execz .LBB16_80
; %bb.79:
	v_fma_f32 v3, |v5|, 0.5, -2.0
	v_mov_b32_e32 v7, 0x24199b15
	v_fmac_f32_e32 v7, 0xa2a2e5b9, v3
	v_mov_b32_e32 v8, 0x22a2e5b9
	v_fmac_f32_e32 v8, v3, v7
	v_add_f32_e32 v8, 0xa58c275c, v8
	v_fma_f32 v7, v3, v8, -v7
	v_add_f32_e32 v7, 0x26f736c5, v7
	v_fma_f32 v8, v3, v7, -v8
	;; [unrolled: 2-line block ×22, first 2 shown]
	v_add_f32_e32 v8, 0xbcc274f8, v8
	s_mov_b32 s2, 0x3fb8aa3b
	v_fma_f32 v7, v3, v8, -v7
	v_mul_f32_e64 v9, |v5|, s2
	v_add_f32_e32 v7, 0x3d49f456, v7
	v_rndne_f32_e32 v10, v9
	v_fma_f32 v8, v3, v7, -v8
	v_sub_f32_e32 v11, v9, v10
	v_fma_f32 v9, |v5|, s2, -v9
	s_mov_b32 s2, 0x32a5705f
	v_add_f32_e32 v8, 0xbdc25b82, v8
	v_fma_f32 v9, |v5|, s2, v9
	v_fma_f32 v7, v3, v8, -v7
	v_add_f32_e32 v9, v11, v9
	v_add_f32_e32 v7, 0x3e2fbd64, v7
	v_exp_f32_e32 v9, v9
	v_cvt_i32_f32_e32 v10, v10
	v_fma_f32 v8, v3, v7, -v8
	v_add_f32_e32 v8, 0xbe9bff5e, v8
	v_fma_f32 v3, v3, v8, -v7
	s_mov_b32 s2, 0xc2ce8ed0
	v_add_f32_e32 v3, 0x3f2d4275, v3
	v_ldexp_f32 v8, v9, v10
	v_cmp_nlt_f32_e64 vcc, |v5|, s2
	s_mov_b32 s2, 0x42b17218
	v_cndmask_b32_e32 v8, 0, v8, vcc
	v_mov_b32_e32 v9, 0x7f800000
	v_cmp_ngt_f32_e64 vcc, |v5|, s2
	v_sub_f32_e32 v3, v3, v7
	v_cndmask_b32_e32 v5, v9, v8, vcc
	v_mul_f32_e32 v3, 0.5, v3
	v_mul_f32_e32 v3, v5, v3
                                        ; implicit-def: $vgpr5
.LBB16_80:
	s_andn2_saveexec_b64 s[2:3], s[0:1]
	s_cbranch_execz .LBB16_82
; %bb.81:
	v_and_b32_e32 v3, 0x7fffffff, v5
	s_mov_b32 s8, 0x42000000
	v_div_scale_f32 v7, s[0:1], v3, v3, s8
	v_rcp_f32_e32 v8, v7
	v_div_scale_f32 v3, vcc, s8, v3, s8
	s_mov_b32 s0, 0x3fb8aa3b
	v_fma_f32 v9, -v7, v8, 1.0
	v_fmac_f32_e32 v8, v9, v8
	v_mul_f32_e32 v9, v3, v8
	v_fma_f32 v10, -v7, v9, v3
	v_fmac_f32_e32 v9, v10, v8
	v_fma_f32 v3, -v7, v9, v3
	v_div_fmas_f32 v3, v3, v8, v9
	v_div_fixup_f32 v3, v3, |v5|, s8
	v_add_f32_e32 v3, -2.0, v3
	v_mov_b32_e32 v7, 0xa2b236d3
	v_fmac_f32_e32 v7, 0xa3056dbb, v3
	v_mov_b32_e32 v8, 0x23056dbb
	v_fmac_f32_e32 v8, v3, v7
	v_add_f32_e32 v8, 0x244df0c1, v8
	v_fma_f32 v7, v3, v8, -v7
	v_add_f32_e32 v7, 0x241f9ee8, v7
	v_fma_f32 v8, v3, v7, -v8
	;; [unrolled: 2-line block ×17, first 2 shown]
	v_add_f32_e32 v7, 0x32c2b494, v7
	v_mul_f32_e64 v9, |v5|, s0
	v_fma_f32 v8, v3, v7, -v8
	v_rndne_f32_e32 v10, v9
	v_add_f32_e32 v8, 0x345c003f, v8
	v_sub_f32_e32 v11, v9, v10
	v_fma_f32 v9, |v5|, s0, -v9
	s_mov_b32 s0, 0x32a5705f
	v_fma_f32 v7, v3, v8, -v7
	v_fma_f32 v9, |v5|, s0, v9
	v_add_f32_e32 v7, 0x3642095e, v7
	v_add_f32_e32 v9, v11, v9
	v_fma_f32 v8, v3, v7, -v8
	v_exp_f32_e32 v9, v9
	v_cvt_i32_f32_e32 v10, v10
	v_add_f32_e32 v8, 0x38907d1c, v8
	v_fma_f32 v7, v3, v8, -v7
	v_add_f32_e32 v7, 0x3b5ccc65, v7
	s_mov_b32 s0, 0xc2ce8ed0
	v_fma_f32 v3, v3, v7, -v8
	v_ldexp_f32 v7, v9, v10
	v_cmp_nlt_f32_e64 vcc, |v5|, s0
	s_mov_b32 s0, 0x42b17218
	v_cndmask_b32_e32 v7, 0, v7, vcc
	v_mov_b32_e32 v9, 0x7f800000
	v_cmp_ngt_f32_e64 vcc, |v5|, s0
	s_mov_b32 s0, 0xf800000
	s_mov_b32 s1, 0x4f800000
	v_cndmask_b32_e32 v7, v9, v7, vcc
	v_mul_f32_e64 v9, |v5|, s1
	v_cmp_lt_f32_e64 vcc, |v5|, s0
	v_cndmask_b32_e64 v5, |v5|, v9, vcc
	v_sqrt_f32_e32 v9, v5
	v_add_f32_e32 v3, 0x3f4df315, v3
	v_sub_f32_e32 v3, v3, v8
	v_mul_f32_e32 v3, 0.5, v3
	v_mul_f32_e32 v3, v7, v3
	v_add_u32_e32 v7, -1, v9
	v_fma_f32 v8, -v7, v9, v5
	v_cmp_ge_f32_e64 s[0:1], 0, v8
	v_add_u32_e32 v8, 1, v9
	v_cndmask_b32_e64 v7, v9, v7, s[0:1]
	v_fma_f32 v9, -v8, v9, v5
	v_cmp_lt_f32_e64 s[0:1], 0, v9
	v_cndmask_b32_e64 v7, v7, v8, s[0:1]
	v_mul_f32_e32 v8, 0x37800000, v7
	v_cndmask_b32_e32 v7, v7, v8, vcc
	v_mov_b32_e32 v8, 0x260
	v_cmp_class_f32_e32 vcc, v5, v8
	v_cndmask_b32_e32 v5, v7, v5, vcc
	v_div_scale_f32 v7, s[0:1], v5, v5, v3
	v_rcp_f32_e32 v8, v7
	v_fma_f32 v9, -v7, v8, 1.0
	v_fmac_f32_e32 v8, v9, v8
	v_div_scale_f32 v9, vcc, v3, v5, v3
	v_mul_f32_e32 v10, v9, v8
	v_fma_f32 v11, -v7, v10, v9
	v_fmac_f32_e32 v10, v11, v8
	v_fma_f32 v7, -v7, v10, v9
	v_div_fmas_f32 v7, v7, v8, v10
	v_div_fixup_f32 v3, v7, v5, v3
.LBB16_82:
	s_or_b64 exec, exec, s[2:3]
	global_load_dword v7, v12, s[6:7]
	s_mov_b32 s0, 0x41000000
                                        ; implicit-def: $vgpr5
	s_waitcnt vmcnt(0)
	v_cmp_le_f32_e64 s[0:1], |v7|, s0
	s_and_saveexec_b64 s[2:3], s[0:1]
	s_xor_b64 s[0:1], exec, s[2:3]
	s_cbranch_execz .LBB16_84
; %bb.83:
	v_fma_f32 v5, |v7|, 0.5, -2.0
	v_mov_b32_e32 v8, 0x24199b15
	v_fmac_f32_e32 v8, 0xa2a2e5b9, v5
	v_mov_b32_e32 v9, 0x22a2e5b9
	v_fmac_f32_e32 v9, v5, v8
	v_add_f32_e32 v9, 0xa58c275c, v9
	v_fma_f32 v8, v5, v9, -v8
	v_add_f32_e32 v8, 0x26f736c5, v8
	v_fma_f32 v9, v5, v8, -v9
	;; [unrolled: 2-line block ×22, first 2 shown]
	v_add_f32_e32 v9, 0xbcc274f8, v9
	s_mov_b32 s2, 0x3fb8aa3b
	v_fma_f32 v8, v5, v9, -v8
	v_mul_f32_e64 v10, |v7|, s2
	v_add_f32_e32 v8, 0x3d49f456, v8
	v_rndne_f32_e32 v11, v10
	v_fma_f32 v9, v5, v8, -v9
	v_sub_f32_e32 v12, v10, v11
	v_fma_f32 v10, |v7|, s2, -v10
	s_mov_b32 s2, 0x32a5705f
	v_add_f32_e32 v9, 0xbdc25b82, v9
	v_fma_f32 v10, |v7|, s2, v10
	v_fma_f32 v8, v5, v9, -v8
	v_add_f32_e32 v10, v12, v10
	v_add_f32_e32 v8, 0x3e2fbd64, v8
	v_exp_f32_e32 v10, v10
	v_cvt_i32_f32_e32 v11, v11
	v_fma_f32 v9, v5, v8, -v9
	v_add_f32_e32 v9, 0xbe9bff5e, v9
	v_fma_f32 v5, v5, v9, -v8
	s_mov_b32 s2, 0xc2ce8ed0
	v_add_f32_e32 v5, 0x3f2d4275, v5
	v_ldexp_f32 v9, v10, v11
	v_cmp_nlt_f32_e64 vcc, |v7|, s2
	s_mov_b32 s2, 0x42b17218
	v_cndmask_b32_e32 v9, 0, v9, vcc
	v_mov_b32_e32 v10, 0x7f800000
	v_cmp_ngt_f32_e64 vcc, |v7|, s2
	v_sub_f32_e32 v5, v5, v8
	v_cndmask_b32_e32 v7, v10, v9, vcc
	v_mul_f32_e32 v5, 0.5, v5
	v_mul_f32_e32 v5, v7, v5
                                        ; implicit-def: $vgpr7
.LBB16_84:
	s_andn2_saveexec_b64 s[2:3], s[0:1]
	s_cbranch_execz .LBB16_86
; %bb.85:
	v_and_b32_e32 v5, 0x7fffffff, v7
	s_mov_b32 s8, 0x42000000
	v_div_scale_f32 v8, s[0:1], v5, v5, s8
	v_rcp_f32_e32 v9, v8
	v_div_scale_f32 v5, vcc, s8, v5, s8
	s_mov_b32 s0, 0x3fb8aa3b
	v_fma_f32 v10, -v8, v9, 1.0
	v_fmac_f32_e32 v9, v10, v9
	v_mul_f32_e32 v10, v5, v9
	v_fma_f32 v11, -v8, v10, v5
	v_fmac_f32_e32 v10, v11, v9
	v_fma_f32 v5, -v8, v10, v5
	v_div_fmas_f32 v5, v5, v9, v10
	v_div_fixup_f32 v5, v5, |v7|, s8
	v_add_f32_e32 v5, -2.0, v5
	v_mov_b32_e32 v8, 0xa2b236d3
	v_fmac_f32_e32 v8, 0xa3056dbb, v5
	v_mov_b32_e32 v9, 0x23056dbb
	v_fmac_f32_e32 v9, v5, v8
	v_add_f32_e32 v9, 0x244df0c1, v9
	v_fma_f32 v8, v5, v9, -v8
	v_add_f32_e32 v8, 0x241f9ee8, v8
	v_fma_f32 v9, v5, v8, -v9
	;; [unrolled: 2-line block ×17, first 2 shown]
	v_add_f32_e32 v8, 0x32c2b494, v8
	v_mul_f32_e64 v10, |v7|, s0
	v_fma_f32 v9, v5, v8, -v9
	v_rndne_f32_e32 v11, v10
	v_add_f32_e32 v9, 0x345c003f, v9
	v_sub_f32_e32 v12, v10, v11
	v_fma_f32 v10, |v7|, s0, -v10
	s_mov_b32 s0, 0x32a5705f
	v_fma_f32 v8, v5, v9, -v8
	v_fma_f32 v10, |v7|, s0, v10
	v_add_f32_e32 v8, 0x3642095e, v8
	v_add_f32_e32 v10, v12, v10
	v_fma_f32 v9, v5, v8, -v9
	v_exp_f32_e32 v10, v10
	v_cvt_i32_f32_e32 v11, v11
	v_add_f32_e32 v9, 0x38907d1c, v9
	v_fma_f32 v8, v5, v9, -v8
	v_add_f32_e32 v8, 0x3b5ccc65, v8
	s_mov_b32 s0, 0xc2ce8ed0
	v_fma_f32 v5, v5, v8, -v9
	v_ldexp_f32 v8, v10, v11
	v_cmp_nlt_f32_e64 vcc, |v7|, s0
	s_mov_b32 s0, 0x42b17218
	v_cndmask_b32_e32 v8, 0, v8, vcc
	v_mov_b32_e32 v10, 0x7f800000
	v_cmp_ngt_f32_e64 vcc, |v7|, s0
	s_mov_b32 s0, 0xf800000
	s_mov_b32 s1, 0x4f800000
	v_cndmask_b32_e32 v8, v10, v8, vcc
	v_mul_f32_e64 v10, |v7|, s1
	v_cmp_lt_f32_e64 vcc, |v7|, s0
	v_cndmask_b32_e64 v7, |v7|, v10, vcc
	v_sqrt_f32_e32 v10, v7
	v_add_f32_e32 v5, 0x3f4df315, v5
	v_sub_f32_e32 v5, v5, v9
	v_mul_f32_e32 v5, 0.5, v5
	v_mul_f32_e32 v5, v8, v5
	v_add_u32_e32 v8, -1, v10
	v_fma_f32 v9, -v8, v10, v7
	v_cmp_ge_f32_e64 s[0:1], 0, v9
	v_add_u32_e32 v9, 1, v10
	v_cndmask_b32_e64 v8, v10, v8, s[0:1]
	v_fma_f32 v10, -v9, v10, v7
	v_cmp_lt_f32_e64 s[0:1], 0, v10
	v_cndmask_b32_e64 v8, v8, v9, s[0:1]
	v_mul_f32_e32 v9, 0x37800000, v8
	v_cndmask_b32_e32 v8, v8, v9, vcc
	v_mov_b32_e32 v9, 0x260
	v_cmp_class_f32_e32 vcc, v7, v9
	v_cndmask_b32_e32 v7, v8, v7, vcc
	v_div_scale_f32 v8, s[0:1], v7, v7, v5
	v_rcp_f32_e32 v9, v8
	v_fma_f32 v10, -v8, v9, 1.0
	v_fmac_f32_e32 v9, v10, v9
	v_div_scale_f32 v10, vcc, v5, v7, v5
	v_mul_f32_e32 v11, v10, v9
	v_fma_f32 v12, -v8, v11, v10
	v_fmac_f32_e32 v11, v12, v9
	v_fma_f32 v8, -v8, v11, v10
	v_div_fmas_f32 v8, v8, v9, v11
	v_div_fixup_f32 v5, v8, v7, v5
.LBB16_86:
	s_or_b64 exec, exec, s[2:3]
	global_load_dword v7, v14, s[6:7]
	s_mov_b32 s0, 0x41000000
                                        ; implicit-def: $vgpr8
	s_waitcnt vmcnt(0)
	v_cmp_le_f32_e64 s[0:1], |v7|, s0
	s_and_saveexec_b64 s[2:3], s[0:1]
	s_xor_b64 s[0:1], exec, s[2:3]
	s_cbranch_execz .LBB16_88
; %bb.87:
	v_fma_f32 v8, |v7|, 0.5, -2.0
	v_mov_b32_e32 v9, 0x24199b15
	v_fmac_f32_e32 v9, 0xa2a2e5b9, v8
	v_mov_b32_e32 v10, 0x22a2e5b9
	v_fmac_f32_e32 v10, v8, v9
	v_add_f32_e32 v10, 0xa58c275c, v10
	v_fma_f32 v9, v8, v10, -v9
	v_add_f32_e32 v9, 0x26f736c5, v9
	v_fma_f32 v10, v8, v9, -v10
	;; [unrolled: 2-line block ×22, first 2 shown]
	v_add_f32_e32 v10, 0xbcc274f8, v10
	s_mov_b32 s2, 0x3fb8aa3b
	v_fma_f32 v9, v8, v10, -v9
	v_mul_f32_e64 v11, |v7|, s2
	v_add_f32_e32 v9, 0x3d49f456, v9
	v_rndne_f32_e32 v12, v11
	v_fma_f32 v10, v8, v9, -v10
	v_sub_f32_e32 v13, v11, v12
	v_fma_f32 v11, |v7|, s2, -v11
	s_mov_b32 s2, 0x32a5705f
	v_add_f32_e32 v10, 0xbdc25b82, v10
	v_fma_f32 v11, |v7|, s2, v11
	v_fma_f32 v9, v8, v10, -v9
	v_add_f32_e32 v11, v13, v11
	v_add_f32_e32 v9, 0x3e2fbd64, v9
	v_exp_f32_e32 v11, v11
	v_cvt_i32_f32_e32 v12, v12
	v_fma_f32 v10, v8, v9, -v10
	v_add_f32_e32 v10, 0xbe9bff5e, v10
	v_fma_f32 v8, v8, v10, -v9
	s_mov_b32 s2, 0xc2ce8ed0
	v_add_f32_e32 v8, 0x3f2d4275, v8
	v_ldexp_f32 v10, v11, v12
	v_cmp_nlt_f32_e64 vcc, |v7|, s2
	s_mov_b32 s2, 0x42b17218
	v_cndmask_b32_e32 v10, 0, v10, vcc
	v_mov_b32_e32 v11, 0x7f800000
	v_cmp_ngt_f32_e64 vcc, |v7|, s2
	v_sub_f32_e32 v8, v8, v9
	v_cndmask_b32_e32 v7, v11, v10, vcc
	v_mul_f32_e32 v8, 0.5, v8
	v_mul_f32_e32 v8, v7, v8
                                        ; implicit-def: $vgpr7
.LBB16_88:
	s_andn2_saveexec_b64 s[2:3], s[0:1]
	s_cbranch_execz .LBB16_90
; %bb.89:
	v_and_b32_e32 v8, 0x7fffffff, v7
	s_mov_b32 s6, 0x42000000
	v_div_scale_f32 v9, s[0:1], v8, v8, s6
	v_rcp_f32_e32 v10, v9
	v_div_scale_f32 v8, vcc, s6, v8, s6
	s_mov_b32 s0, 0x3fb8aa3b
	v_fma_f32 v11, -v9, v10, 1.0
	v_fmac_f32_e32 v10, v11, v10
	v_mul_f32_e32 v11, v8, v10
	v_fma_f32 v12, -v9, v11, v8
	v_fmac_f32_e32 v11, v12, v10
	v_fma_f32 v8, -v9, v11, v8
	v_div_fmas_f32 v8, v8, v10, v11
	v_div_fixup_f32 v8, v8, |v7|, s6
	v_add_f32_e32 v8, -2.0, v8
	v_mov_b32_e32 v9, 0xa2b236d3
	v_fmac_f32_e32 v9, 0xa3056dbb, v8
	v_mov_b32_e32 v10, 0x23056dbb
	v_fmac_f32_e32 v10, v8, v9
	v_add_f32_e32 v10, 0x244df0c1, v10
	v_fma_f32 v9, v8, v10, -v9
	v_add_f32_e32 v9, 0x241f9ee8, v9
	v_fma_f32 v10, v8, v9, -v10
	;; [unrolled: 2-line block ×17, first 2 shown]
	v_add_f32_e32 v9, 0x32c2b494, v9
	v_mul_f32_e64 v11, |v7|, s0
	v_fma_f32 v10, v8, v9, -v10
	v_rndne_f32_e32 v12, v11
	v_add_f32_e32 v10, 0x345c003f, v10
	v_sub_f32_e32 v13, v11, v12
	v_fma_f32 v11, |v7|, s0, -v11
	s_mov_b32 s0, 0x32a5705f
	v_fma_f32 v9, v8, v10, -v9
	v_fma_f32 v11, |v7|, s0, v11
	v_add_f32_e32 v9, 0x3642095e, v9
	v_add_f32_e32 v11, v13, v11
	v_fma_f32 v10, v8, v9, -v10
	v_exp_f32_e32 v11, v11
	v_cvt_i32_f32_e32 v12, v12
	v_add_f32_e32 v10, 0x38907d1c, v10
	v_fma_f32 v9, v8, v10, -v9
	v_add_f32_e32 v9, 0x3b5ccc65, v9
	s_mov_b32 s0, 0xc2ce8ed0
	v_fma_f32 v8, v8, v9, -v10
	v_ldexp_f32 v9, v11, v12
	v_cmp_nlt_f32_e64 vcc, |v7|, s0
	s_mov_b32 s0, 0x42b17218
	v_cndmask_b32_e32 v9, 0, v9, vcc
	v_mov_b32_e32 v11, 0x7f800000
	v_cmp_ngt_f32_e64 vcc, |v7|, s0
	s_mov_b32 s0, 0xf800000
	s_mov_b32 s1, 0x4f800000
	v_cndmask_b32_e32 v9, v11, v9, vcc
	v_mul_f32_e64 v11, |v7|, s1
	v_cmp_lt_f32_e64 vcc, |v7|, s0
	v_cndmask_b32_e64 v7, |v7|, v11, vcc
	v_sqrt_f32_e32 v11, v7
	v_add_f32_e32 v8, 0x3f4df315, v8
	v_sub_f32_e32 v8, v8, v10
	v_mul_f32_e32 v8, 0.5, v8
	v_mul_f32_e32 v8, v9, v8
	v_add_u32_e32 v9, -1, v11
	v_fma_f32 v10, -v9, v11, v7
	v_cmp_ge_f32_e64 s[0:1], 0, v10
	v_add_u32_e32 v10, 1, v11
	v_cndmask_b32_e64 v9, v11, v9, s[0:1]
	v_fma_f32 v11, -v10, v11, v7
	v_cmp_lt_f32_e64 s[0:1], 0, v11
	v_cndmask_b32_e64 v9, v9, v10, s[0:1]
	v_mul_f32_e32 v10, 0x37800000, v9
	v_cndmask_b32_e32 v9, v9, v10, vcc
	v_mov_b32_e32 v10, 0x260
	v_cmp_class_f32_e32 vcc, v7, v10
	v_cndmask_b32_e32 v7, v9, v7, vcc
	v_div_scale_f32 v9, s[0:1], v7, v7, v8
	v_rcp_f32_e32 v10, v9
	v_fma_f32 v11, -v9, v10, 1.0
	v_fmac_f32_e32 v10, v11, v10
	v_div_scale_f32 v11, vcc, v8, v7, v8
	v_mul_f32_e32 v12, v11, v10
	v_fma_f32 v13, -v9, v12, v11
	v_fmac_f32_e32 v12, v13, v10
	v_fma_f32 v9, -v9, v12, v11
	v_div_fmas_f32 v9, v9, v10, v12
	v_div_fixup_f32 v8, v9, v7, v8
.LBB16_90:
	s_or_b64 exec, exec, s[2:3]
	global_store_dword v0, v1, s[4:5]
	global_store_dword v2, v3, s[4:5]
	;; [unrolled: 1-line block ×4, first 2 shown]
	s_endpgm
.LBB16_91:
	s_mov_b32 s51, s50
	v_pk_mov_b32 v[0:1], s[50:51], s[50:51] op_sel:[0,1]
                                        ; implicit-def: $vgpr2
	v_mov_b32_e32 v3, v4
.LBB16_92:
	s_and_b32 s8, s59, 3
	s_cmp_eq_u32 s8, 0
	s_cbranch_scc1 .LBB16_96
; %bb.93:
	s_lshl_b32 s0, s50, 3
	s_add_u32 s0, s0, s4
	s_addc_u32 s1, s5, 0
	s_add_u32 s0, s0, 0xc4
	s_addc_u32 s1, s1, 0
	s_mul_i32 s2, s50, 12
	s_add_u32 s2, s4, s2
	s_addc_u32 s3, s5, 0
.LBB16_94:                              ; =>This Inner Loop Header: Depth=1
	s_load_dwordx2 s[10:11], s[2:3], 0x4
	s_load_dword s9, s[2:3], 0xc
	s_load_dwordx2 s[12:13], s[0:1], 0x0
	v_mov_b32_e32 v2, v1
	s_add_u32 s2, s2, 12
	s_waitcnt lgkmcnt(0)
	v_mul_hi_u32 v1, s11, v3
	v_add_u32_e32 v1, v3, v1
	v_lshrrev_b32_e32 v1, s9, v1
	s_addc_u32 s3, s3, 0
	v_mul_lo_u32 v5, v1, s10
	s_add_u32 s0, s0, 8
	v_sub_u32_e32 v5, v3, v5
	v_mov_b32_e32 v3, v1
	s_addc_u32 s1, s1, 0
	s_add_i32 s8, s8, -1
	v_mad_u64_u32 v[6:7], s[10:11], v5, s13, v[2:3]
	v_mad_u64_u32 v[0:1], s[10:11], v5, s12, v[0:1]
	s_cmp_lg_u32 s8, 0
	v_mov_b32_e32 v1, v6
	s_cbranch_scc1 .LBB16_94
; %bb.95:
	v_mov_b32_e32 v2, v1
.LBB16_96:
	s_cbranch_execnz .LBB16_99
.LBB16_97:
	s_waitcnt lgkmcnt(0)
	v_mul_hi_u32 v0, s37, v4
	v_add_u32_e32 v0, v4, v0
	v_lshrrev_b32_e32 v1, s38, v0
	v_mul_lo_u32 v0, v1, s36
	v_sub_u32_e32 v0, v4, v0
	v_mul_lo_u32 v2, v0, s29
	s_andn2_b64 vcc, exec, s[42:43]
	v_mul_lo_u32 v0, v0, s28
	s_cbranch_vccnz .LBB16_99
; %bb.98:
	v_mul_hi_u32 v3, s40, v1
	v_add_u32_e32 v3, v1, v3
	v_lshrrev_b32_e32 v3, s41, v3
	v_mul_lo_u32 v3, v3, s39
	v_sub_u32_e32 v3, v1, v3
	v_mad_u64_u32 v[0:1], s[0:1], v3, s30, v[0:1]
	v_mad_u64_u32 v[2:3], s[0:1], v3, s31, v[2:3]
.LBB16_99:
	s_waitcnt lgkmcnt(0)
	global_load_dword v1, v2, s[26:27]
	s_mov_b32 s0, 0x41000000
                                        ; implicit-def: $vgpr2
	s_waitcnt vmcnt(0)
	v_cmp_le_f32_e64 s[0:1], |v1|, s0
	s_and_saveexec_b64 s[2:3], s[0:1]
	s_xor_b64 s[0:1], exec, s[2:3]
	s_cbranch_execz .LBB16_101
; %bb.100:
	v_fma_f32 v2, |v1|, 0.5, -2.0
	v_mov_b32_e32 v3, 0x24199b15
	v_fmac_f32_e32 v3, 0xa2a2e5b9, v2
	v_mov_b32_e32 v5, 0x22a2e5b9
	v_fmac_f32_e32 v5, v2, v3
	v_add_f32_e32 v5, 0xa58c275c, v5
	v_fma_f32 v3, v2, v5, -v3
	v_add_f32_e32 v3, 0x26f736c5, v3
	v_fma_f32 v5, v2, v3, -v5
	;; [unrolled: 2-line block ×22, first 2 shown]
	v_add_f32_e32 v5, 0xbcc274f8, v5
	s_mov_b32 s2, 0x3fb8aa3b
	v_fma_f32 v3, v2, v5, -v3
	v_mul_f32_e64 v6, |v1|, s2
	v_add_f32_e32 v3, 0x3d49f456, v3
	v_rndne_f32_e32 v7, v6
	v_fma_f32 v5, v2, v3, -v5
	v_sub_f32_e32 v8, v6, v7
	v_fma_f32 v6, |v1|, s2, -v6
	s_mov_b32 s2, 0x32a5705f
	v_add_f32_e32 v5, 0xbdc25b82, v5
	v_fma_f32 v6, |v1|, s2, v6
	v_fma_f32 v3, v2, v5, -v3
	v_add_f32_e32 v6, v8, v6
	v_add_f32_e32 v3, 0x3e2fbd64, v3
	v_exp_f32_e32 v6, v6
	v_cvt_i32_f32_e32 v7, v7
	v_fma_f32 v5, v2, v3, -v5
	v_add_f32_e32 v5, 0xbe9bff5e, v5
	v_fma_f32 v2, v2, v5, -v3
	s_mov_b32 s2, 0xc2ce8ed0
	v_add_f32_e32 v2, 0x3f2d4275, v2
	v_ldexp_f32 v5, v6, v7
	v_cmp_nlt_f32_e64 vcc, |v1|, s2
	s_mov_b32 s2, 0x42b17218
	v_cndmask_b32_e32 v5, 0, v5, vcc
	v_mov_b32_e32 v6, 0x7f800000
	v_cmp_ngt_f32_e64 vcc, |v1|, s2
	v_sub_f32_e32 v2, v2, v3
	v_cndmask_b32_e32 v1, v6, v5, vcc
	v_mul_f32_e32 v2, 0.5, v2
	v_mul_f32_e32 v2, v1, v2
                                        ; implicit-def: $vgpr1
.LBB16_101:
	s_andn2_saveexec_b64 s[2:3], s[0:1]
	s_cbranch_execz .LBB16_103
; %bb.102:
	v_and_b32_e32 v2, 0x7fffffff, v1
	s_mov_b32 s8, 0x42000000
	v_div_scale_f32 v3, s[0:1], v2, v2, s8
	v_rcp_f32_e32 v5, v3
	v_div_scale_f32 v2, vcc, s8, v2, s8
	s_mov_b32 s0, 0x3fb8aa3b
	v_fma_f32 v6, -v3, v5, 1.0
	v_fmac_f32_e32 v5, v6, v5
	v_mul_f32_e32 v6, v2, v5
	v_fma_f32 v7, -v3, v6, v2
	v_fmac_f32_e32 v6, v7, v5
	v_fma_f32 v2, -v3, v6, v2
	v_div_fmas_f32 v2, v2, v5, v6
	v_div_fixup_f32 v2, v2, |v1|, s8
	v_add_f32_e32 v2, -2.0, v2
	v_mov_b32_e32 v3, 0xa2b236d3
	v_fmac_f32_e32 v3, 0xa3056dbb, v2
	v_mov_b32_e32 v5, 0x23056dbb
	v_fmac_f32_e32 v5, v2, v3
	v_add_f32_e32 v5, 0x244df0c1, v5
	v_fma_f32 v3, v2, v5, -v3
	v_add_f32_e32 v3, 0x241f9ee8, v3
	v_fma_f32 v5, v2, v3, -v5
	;; [unrolled: 2-line block ×17, first 2 shown]
	v_add_f32_e32 v3, 0x32c2b494, v3
	v_mul_f32_e64 v6, |v1|, s0
	v_fma_f32 v5, v2, v3, -v5
	v_rndne_f32_e32 v7, v6
	v_add_f32_e32 v5, 0x345c003f, v5
	v_sub_f32_e32 v8, v6, v7
	v_fma_f32 v6, |v1|, s0, -v6
	s_mov_b32 s0, 0x32a5705f
	v_fma_f32 v3, v2, v5, -v3
	v_fma_f32 v6, |v1|, s0, v6
	v_add_f32_e32 v3, 0x3642095e, v3
	v_add_f32_e32 v6, v8, v6
	v_fma_f32 v5, v2, v3, -v5
	v_exp_f32_e32 v6, v6
	v_cvt_i32_f32_e32 v7, v7
	v_add_f32_e32 v5, 0x38907d1c, v5
	v_fma_f32 v3, v2, v5, -v3
	v_add_f32_e32 v3, 0x3b5ccc65, v3
	s_mov_b32 s0, 0xc2ce8ed0
	v_fma_f32 v2, v2, v3, -v5
	v_ldexp_f32 v3, v6, v7
	v_cmp_nlt_f32_e64 vcc, |v1|, s0
	s_mov_b32 s0, 0x42b17218
	v_cndmask_b32_e32 v3, 0, v3, vcc
	v_mov_b32_e32 v6, 0x7f800000
	v_cmp_ngt_f32_e64 vcc, |v1|, s0
	s_mov_b32 s0, 0xf800000
	s_mov_b32 s1, 0x4f800000
	v_cndmask_b32_e32 v3, v6, v3, vcc
	v_mul_f32_e64 v6, |v1|, s1
	v_cmp_lt_f32_e64 vcc, |v1|, s0
	v_cndmask_b32_e64 v1, |v1|, v6, vcc
	v_sqrt_f32_e32 v6, v1
	v_add_f32_e32 v2, 0x3f4df315, v2
	v_sub_f32_e32 v2, v2, v5
	v_mul_f32_e32 v2, 0.5, v2
	v_mul_f32_e32 v2, v3, v2
	v_add_u32_e32 v3, -1, v6
	v_fma_f32 v5, -v3, v6, v1
	v_cmp_ge_f32_e64 s[0:1], 0, v5
	v_add_u32_e32 v5, 1, v6
	v_cndmask_b32_e64 v3, v6, v3, s[0:1]
	v_fma_f32 v6, -v5, v6, v1
	v_cmp_lt_f32_e64 s[0:1], 0, v6
	v_cndmask_b32_e64 v3, v3, v5, s[0:1]
	v_mul_f32_e32 v5, 0x37800000, v3
	v_cndmask_b32_e32 v3, v3, v5, vcc
	v_mov_b32_e32 v5, 0x260
	v_cmp_class_f32_e32 vcc, v1, v5
	v_cndmask_b32_e32 v1, v3, v1, vcc
	v_div_scale_f32 v3, s[0:1], v1, v1, v2
	v_rcp_f32_e32 v5, v3
	v_fma_f32 v6, -v3, v5, 1.0
	v_fmac_f32_e32 v5, v6, v5
	v_div_scale_f32 v6, vcc, v2, v1, v2
	v_mul_f32_e32 v7, v6, v5
	v_fma_f32 v8, -v3, v7, v6
	v_fmac_f32_e32 v7, v8, v5
	v_fma_f32 v3, -v3, v7, v6
	v_div_fmas_f32 v3, v3, v5, v7
	v_div_fixup_f32 v2, v3, v1, v2
.LBB16_103:
	s_or_b64 exec, exec, s[2:3]
	v_add_u32_e32 v4, 0x80, v4
	global_store_dword v0, v2, s[24:25]
	s_or_b64 exec, exec, s[48:49]
	v_cmp_gt_i32_e32 vcc, s57, v4
	s_and_saveexec_b64 s[48:49], vcc
	s_cbranch_execnz .LBB16_17
.LBB16_104:
	s_or_b64 exec, exec, s[48:49]
	v_cmp_gt_i32_e32 vcc, s57, v4
	s_and_saveexec_b64 s[48:49], vcc
	s_cbranch_execz .LBB16_125
.LBB16_105:
	s_andn2_b64 vcc, exec, s[6:7]
	s_cbranch_vccnz .LBB16_111
; %bb.106:
	s_mov_b32 s50, 0
	s_andn2_b64 vcc, exec, s[46:47]
	v_mov_b32_e32 v2, 0
	v_mov_b32_e32 v0, 0
	s_cbranch_vccnz .LBB16_133
; %bb.107:
	s_add_i32 s59, s58, 1
	s_cmp_eq_u32 s56, 2
	s_cbranch_scc1 .LBB16_128
; %bb.108:
	s_and_b32 s50, s59, 28
	s_mov_b32 s51, 0
	v_mov_b32_e32 v0, 0
	s_mov_b64 s[52:53], s[4:5]
	s_mov_b64 s[54:55], s[44:45]
	v_mov_b32_e32 v3, v4
	v_mov_b32_e32 v2, 0
.LBB16_109:                             ; =>This Inner Loop Header: Depth=1
	s_load_dwordx8 s[16:23], s[52:53], 0x4
	s_load_dwordx4 s[0:3], s[52:53], 0x24
	s_load_dwordx8 s[8:15], s[54:55], 0x0
	s_add_u32 s52, s52, 48
	s_addc_u32 s53, s53, 0
	s_waitcnt lgkmcnt(0)
	v_mul_hi_u32 v1, s17, v3
	v_add_u32_e32 v1, v3, v1
	v_lshrrev_b32_e32 v1, s18, v1
	v_mul_lo_u32 v5, v1, s16
	v_mul_hi_u32 v6, s20, v1
	v_sub_u32_e32 v3, v3, v5
	v_add_u32_e32 v5, v1, v6
	v_lshrrev_b32_e32 v5, s21, v5
	v_mul_lo_u32 v7, v5, s19
	v_mul_hi_u32 v8, s23, v5
	v_sub_u32_e32 v1, v1, v7
	v_add_u32_e32 v7, v5, v8
	v_mul_lo_u32 v6, v3, s9
	v_mul_lo_u32 v3, v3, s8
	;; [unrolled: 1-line block ×4, first 2 shown]
	v_lshrrev_b32_e32 v7, s0, v7
	v_add3_u32 v0, v3, v0, v1
	v_mul_hi_u32 v3, s2, v7
	v_add_u32_e32 v3, v7, v3
	v_lshrrev_b32_e32 v3, s3, v3
	s_add_i32 s51, s51, 4
	v_add3_u32 v1, v6, v2, v8
	v_mul_lo_u32 v2, v7, s22
	v_mul_lo_u32 v6, v3, s1
	s_add_u32 s54, s54, 32
	v_sub_u32_e32 v2, v5, v2
	v_sub_u32_e32 v6, v7, v6
	s_addc_u32 s55, s55, 0
	v_mul_lo_u32 v5, v2, s12
	v_mul_lo_u32 v2, v2, s13
	;; [unrolled: 1-line block ×4, first 2 shown]
	s_cmp_eq_u32 s50, s51
	v_add3_u32 v2, v2, v1, v6
	v_add3_u32 v0, v5, v0, v7
	s_cbranch_scc0 .LBB16_109
; %bb.110:
	v_mov_b32_e32 v1, v2
	s_branch .LBB16_129
.LBB16_111:
                                        ; implicit-def: $vgpr2
                                        ; implicit-def: $vgpr0
	s_branch .LBB16_134
.LBB16_112:
	s_mov_b32 s51, s50
	v_pk_mov_b32 v[0:1], s[50:51], s[50:51] op_sel:[0,1]
                                        ; implicit-def: $vgpr2
	v_mov_b32_e32 v3, v4
.LBB16_113:
	s_and_b32 s8, s59, 3
	s_cmp_eq_u32 s8, 0
	s_cbranch_scc1 .LBB16_117
; %bb.114:
	s_lshl_b32 s0, s50, 3
	s_add_u32 s0, s0, s4
	s_addc_u32 s1, s5, 0
	s_add_u32 s0, s0, 0xc4
	s_addc_u32 s1, s1, 0
	s_mul_i32 s2, s50, 12
	s_add_u32 s2, s4, s2
	s_addc_u32 s3, s5, 0
.LBB16_115:                             ; =>This Inner Loop Header: Depth=1
	s_load_dwordx2 s[10:11], s[2:3], 0x4
	s_load_dword s9, s[2:3], 0xc
	s_load_dwordx2 s[12:13], s[0:1], 0x0
	v_mov_b32_e32 v2, v1
	s_add_u32 s2, s2, 12
	s_waitcnt lgkmcnt(0)
	v_mul_hi_u32 v1, s11, v3
	v_add_u32_e32 v1, v3, v1
	v_lshrrev_b32_e32 v1, s9, v1
	s_addc_u32 s3, s3, 0
	v_mul_lo_u32 v5, v1, s10
	s_add_u32 s0, s0, 8
	v_sub_u32_e32 v5, v3, v5
	v_mov_b32_e32 v3, v1
	s_addc_u32 s1, s1, 0
	s_add_i32 s8, s8, -1
	v_mad_u64_u32 v[6:7], s[10:11], v5, s13, v[2:3]
	v_mad_u64_u32 v[0:1], s[10:11], v5, s12, v[0:1]
	s_cmp_lg_u32 s8, 0
	v_mov_b32_e32 v1, v6
	s_cbranch_scc1 .LBB16_115
; %bb.116:
	v_mov_b32_e32 v2, v1
.LBB16_117:
	s_cbranch_execnz .LBB16_120
.LBB16_118:
	s_waitcnt lgkmcnt(0)
	v_mul_hi_u32 v0, s37, v4
	v_add_u32_e32 v0, v4, v0
	v_lshrrev_b32_e32 v1, s38, v0
	v_mul_lo_u32 v0, v1, s36
	v_sub_u32_e32 v0, v4, v0
	v_mul_lo_u32 v2, v0, s29
	s_andn2_b64 vcc, exec, s[42:43]
	v_mul_lo_u32 v0, v0, s28
	s_cbranch_vccnz .LBB16_120
; %bb.119:
	v_mul_hi_u32 v3, s40, v1
	v_add_u32_e32 v3, v1, v3
	v_lshrrev_b32_e32 v3, s41, v3
	v_mul_lo_u32 v3, v3, s39
	v_sub_u32_e32 v3, v1, v3
	v_mad_u64_u32 v[0:1], s[0:1], v3, s30, v[0:1]
	v_mad_u64_u32 v[2:3], s[0:1], v3, s31, v[2:3]
.LBB16_120:
	s_waitcnt lgkmcnt(0)
	global_load_dword v1, v2, s[26:27]
	s_mov_b32 s0, 0x41000000
                                        ; implicit-def: $vgpr2
	s_waitcnt vmcnt(0)
	v_cmp_le_f32_e64 s[0:1], |v1|, s0
	s_and_saveexec_b64 s[2:3], s[0:1]
	s_xor_b64 s[0:1], exec, s[2:3]
	s_cbranch_execz .LBB16_122
; %bb.121:
	v_fma_f32 v2, |v1|, 0.5, -2.0
	v_mov_b32_e32 v3, 0x24199b15
	v_fmac_f32_e32 v3, 0xa2a2e5b9, v2
	v_mov_b32_e32 v5, 0x22a2e5b9
	v_fmac_f32_e32 v5, v2, v3
	v_add_f32_e32 v5, 0xa58c275c, v5
	v_fma_f32 v3, v2, v5, -v3
	v_add_f32_e32 v3, 0x26f736c5, v3
	v_fma_f32 v5, v2, v3, -v5
	v_add_f32_e32 v5, 0xa8528116, v5
	v_fma_f32 v3, v2, v5, -v3
	v_add_f32_e32 v3, 0x29acda32, v3
	v_fma_f32 v5, v2, v3, -v5
	v_add_f32_e32 v5, 0xab08b263, v5
	v_fma_f32 v3, v2, v5, -v3
	v_add_f32_e32 v3, 0x2c4ff17f, v3
	v_fma_f32 v5, v2, v3, -v5
	v_add_f32_e32 v5, 0xad97e4ac, v5
	v_fma_f32 v3, v2, v5, -v3
	v_add_f32_e32 v3, 0x2ed4c5f6, v3
	v_fma_f32 v5, v2, v3, -v5
	v_add_f32_e32 v5, 0xb00ea7f1, v5
	v_fma_f32 v3, v2, v5, -v3
	v_add_f32_e32 v3, 0x3136c81d, v3
	v_fma_f32 v5, v2, v3, -v5
	v_add_f32_e32 v5, 0xb25f57b4, v5
	v_fma_f32 v3, v2, v5, -v3
	v_add_f32_e32 v3, 0x3381dbb5, v3
	v_fma_f32 v5, v2, v3, -v5
	v_add_f32_e32 v5, 0xb48f631c, v5
	v_fma_f32 v3, v2, v5, -v3
	v_add_f32_e32 v3, 0x3595f925, v3
	v_fma_f32 v5, v2, v3, -v5
	v_add_f32_e32 v5, 0xb694337e, v5
	v_fma_f32 v3, v2, v5, -v3
	v_add_f32_e32 v3, 0x3789fac6, v3
	v_fma_f32 v5, v2, v3, -v5
	v_add_f32_e32 v5, 0xb8715933, v5
	v_fma_f32 v3, v2, v5, -v3
	v_add_f32_e32 v3, 0x3945a8dc, v3
	v_fma_f32 v5, v2, v3, -v5
	v_add_f32_e32 v5, 0xba1717e9, v5
	v_fma_f32 v3, v2, v5, -v3
	v_add_f32_e32 v3, 0x3ad6e3ac, v3
	v_fma_f32 v5, v2, v3, -v5
	v_add_f32_e32 v5, 0xbb8db2f1, v5
	v_fma_f32 v3, v2, v5, -v3
	v_add_f32_e32 v3, 0x3c2ccb10, v3
	v_fma_f32 v5, v2, v3, -v5
	v_add_f32_e32 v5, 0xbcc274f8, v5
	s_mov_b32 s2, 0x3fb8aa3b
	v_fma_f32 v3, v2, v5, -v3
	v_mul_f32_e64 v6, |v1|, s2
	v_add_f32_e32 v3, 0x3d49f456, v3
	v_rndne_f32_e32 v7, v6
	v_fma_f32 v5, v2, v3, -v5
	v_sub_f32_e32 v8, v6, v7
	v_fma_f32 v6, |v1|, s2, -v6
	s_mov_b32 s2, 0x32a5705f
	v_add_f32_e32 v5, 0xbdc25b82, v5
	v_fma_f32 v6, |v1|, s2, v6
	v_fma_f32 v3, v2, v5, -v3
	v_add_f32_e32 v6, v8, v6
	v_add_f32_e32 v3, 0x3e2fbd64, v3
	v_exp_f32_e32 v6, v6
	v_cvt_i32_f32_e32 v7, v7
	v_fma_f32 v5, v2, v3, -v5
	v_add_f32_e32 v5, 0xbe9bff5e, v5
	v_fma_f32 v2, v2, v5, -v3
	s_mov_b32 s2, 0xc2ce8ed0
	v_add_f32_e32 v2, 0x3f2d4275, v2
	v_ldexp_f32 v5, v6, v7
	v_cmp_nlt_f32_e64 vcc, |v1|, s2
	s_mov_b32 s2, 0x42b17218
	v_cndmask_b32_e32 v5, 0, v5, vcc
	v_mov_b32_e32 v6, 0x7f800000
	v_cmp_ngt_f32_e64 vcc, |v1|, s2
	v_sub_f32_e32 v2, v2, v3
	v_cndmask_b32_e32 v1, v6, v5, vcc
	v_mul_f32_e32 v2, 0.5, v2
	v_mul_f32_e32 v2, v1, v2
                                        ; implicit-def: $vgpr1
.LBB16_122:
	s_andn2_saveexec_b64 s[2:3], s[0:1]
	s_cbranch_execz .LBB16_124
; %bb.123:
	v_and_b32_e32 v2, 0x7fffffff, v1
	s_mov_b32 s8, 0x42000000
	v_div_scale_f32 v3, s[0:1], v2, v2, s8
	v_rcp_f32_e32 v5, v3
	v_div_scale_f32 v2, vcc, s8, v2, s8
	s_mov_b32 s0, 0x3fb8aa3b
	v_fma_f32 v6, -v3, v5, 1.0
	v_fmac_f32_e32 v5, v6, v5
	v_mul_f32_e32 v6, v2, v5
	v_fma_f32 v7, -v3, v6, v2
	v_fmac_f32_e32 v6, v7, v5
	v_fma_f32 v2, -v3, v6, v2
	v_div_fmas_f32 v2, v2, v5, v6
	v_div_fixup_f32 v2, v2, |v1|, s8
	v_add_f32_e32 v2, -2.0, v2
	v_mov_b32_e32 v3, 0xa2b236d3
	v_fmac_f32_e32 v3, 0xa3056dbb, v2
	v_mov_b32_e32 v5, 0x23056dbb
	v_fmac_f32_e32 v5, v2, v3
	v_add_f32_e32 v5, 0x244df0c1, v5
	v_fma_f32 v3, v2, v5, -v3
	v_add_f32_e32 v3, 0x241f9ee8, v3
	v_fma_f32 v5, v2, v3, -v5
	;; [unrolled: 2-line block ×17, first 2 shown]
	v_add_f32_e32 v3, 0x32c2b494, v3
	v_mul_f32_e64 v6, |v1|, s0
	v_fma_f32 v5, v2, v3, -v5
	v_rndne_f32_e32 v7, v6
	v_add_f32_e32 v5, 0x345c003f, v5
	v_sub_f32_e32 v8, v6, v7
	v_fma_f32 v6, |v1|, s0, -v6
	s_mov_b32 s0, 0x32a5705f
	v_fma_f32 v3, v2, v5, -v3
	v_fma_f32 v6, |v1|, s0, v6
	v_add_f32_e32 v3, 0x3642095e, v3
	v_add_f32_e32 v6, v8, v6
	v_fma_f32 v5, v2, v3, -v5
	v_exp_f32_e32 v6, v6
	v_cvt_i32_f32_e32 v7, v7
	v_add_f32_e32 v5, 0x38907d1c, v5
	v_fma_f32 v3, v2, v5, -v3
	v_add_f32_e32 v3, 0x3b5ccc65, v3
	s_mov_b32 s0, 0xc2ce8ed0
	v_fma_f32 v2, v2, v3, -v5
	v_ldexp_f32 v3, v6, v7
	v_cmp_nlt_f32_e64 vcc, |v1|, s0
	s_mov_b32 s0, 0x42b17218
	v_cndmask_b32_e32 v3, 0, v3, vcc
	v_mov_b32_e32 v6, 0x7f800000
	v_cmp_ngt_f32_e64 vcc, |v1|, s0
	s_mov_b32 s0, 0xf800000
	s_mov_b32 s1, 0x4f800000
	v_cndmask_b32_e32 v3, v6, v3, vcc
	v_mul_f32_e64 v6, |v1|, s1
	v_cmp_lt_f32_e64 vcc, |v1|, s0
	v_cndmask_b32_e64 v1, |v1|, v6, vcc
	v_sqrt_f32_e32 v6, v1
	v_add_f32_e32 v2, 0x3f4df315, v2
	v_sub_f32_e32 v2, v2, v5
	v_mul_f32_e32 v2, 0.5, v2
	v_mul_f32_e32 v2, v3, v2
	v_add_u32_e32 v3, -1, v6
	v_fma_f32 v5, -v3, v6, v1
	v_cmp_ge_f32_e64 s[0:1], 0, v5
	v_add_u32_e32 v5, 1, v6
	v_cndmask_b32_e64 v3, v6, v3, s[0:1]
	v_fma_f32 v6, -v5, v6, v1
	v_cmp_lt_f32_e64 s[0:1], 0, v6
	v_cndmask_b32_e64 v3, v3, v5, s[0:1]
	v_mul_f32_e32 v5, 0x37800000, v3
	v_cndmask_b32_e32 v3, v3, v5, vcc
	v_mov_b32_e32 v5, 0x260
	v_cmp_class_f32_e32 vcc, v1, v5
	v_cndmask_b32_e32 v1, v3, v1, vcc
	v_div_scale_f32 v3, s[0:1], v1, v1, v2
	v_rcp_f32_e32 v5, v3
	v_fma_f32 v6, -v3, v5, 1.0
	v_fmac_f32_e32 v5, v6, v5
	v_div_scale_f32 v6, vcc, v2, v1, v2
	v_mul_f32_e32 v7, v6, v5
	v_fma_f32 v8, -v3, v7, v6
	v_fmac_f32_e32 v7, v8, v5
	v_fma_f32 v3, -v3, v7, v6
	v_div_fmas_f32 v3, v3, v5, v7
	v_div_fixup_f32 v2, v3, v1, v2
.LBB16_124:
	s_or_b64 exec, exec, s[2:3]
	v_add_u32_e32 v4, 0x80, v4
	global_store_dword v0, v2, s[24:25]
	s_or_b64 exec, exec, s[48:49]
	v_cmp_gt_i32_e32 vcc, s57, v4
	s_and_saveexec_b64 s[48:49], vcc
	s_cbranch_execnz .LBB16_105
.LBB16_125:
	s_or_b64 exec, exec, s[48:49]
	v_cmp_gt_i32_e32 vcc, s57, v4
	s_and_saveexec_b64 s[48:49], vcc
	s_cbranch_execnz .LBB16_141
.LBB16_126:
	s_or_b64 exec, exec, s[48:49]
                                        ; implicit-def: $vgpr15
                                        ; implicit-def: $vgpr4
	s_andn2_saveexec_b64 s[0:1], s[34:35]
	s_cbranch_execnz .LBB16_9
.LBB16_127:
	s_endpgm
.LBB16_128:
	s_mov_b32 s51, s50
	v_pk_mov_b32 v[0:1], s[50:51], s[50:51] op_sel:[0,1]
                                        ; implicit-def: $vgpr2
	v_mov_b32_e32 v3, v4
.LBB16_129:
	s_and_b32 s8, s59, 3
	s_cmp_eq_u32 s8, 0
	s_cbranch_scc1 .LBB16_133
; %bb.130:
	s_lshl_b32 s0, s50, 3
	s_add_u32 s0, s0, s4
	s_addc_u32 s1, s5, 0
	s_add_u32 s0, s0, 0xc4
	s_addc_u32 s1, s1, 0
	s_mul_i32 s2, s50, 12
	s_add_u32 s2, s4, s2
	s_addc_u32 s3, s5, 0
.LBB16_131:                             ; =>This Inner Loop Header: Depth=1
	s_load_dwordx2 s[10:11], s[2:3], 0x4
	s_load_dword s9, s[2:3], 0xc
	s_load_dwordx2 s[12:13], s[0:1], 0x0
	v_mov_b32_e32 v2, v1
	s_add_u32 s2, s2, 12
	s_waitcnt lgkmcnt(0)
	v_mul_hi_u32 v1, s11, v3
	v_add_u32_e32 v1, v3, v1
	v_lshrrev_b32_e32 v1, s9, v1
	s_addc_u32 s3, s3, 0
	v_mul_lo_u32 v5, v1, s10
	s_add_u32 s0, s0, 8
	v_sub_u32_e32 v5, v3, v5
	v_mov_b32_e32 v3, v1
	s_addc_u32 s1, s1, 0
	s_add_i32 s8, s8, -1
	v_mad_u64_u32 v[6:7], s[10:11], v5, s13, v[2:3]
	v_mad_u64_u32 v[0:1], s[10:11], v5, s12, v[0:1]
	s_cmp_lg_u32 s8, 0
	v_mov_b32_e32 v1, v6
	s_cbranch_scc1 .LBB16_131
; %bb.132:
	v_mov_b32_e32 v2, v1
.LBB16_133:
	s_cbranch_execnz .LBB16_136
.LBB16_134:
	s_waitcnt lgkmcnt(0)
	v_mul_hi_u32 v0, s37, v4
	v_add_u32_e32 v0, v4, v0
	v_lshrrev_b32_e32 v1, s38, v0
	v_mul_lo_u32 v0, v1, s36
	v_sub_u32_e32 v0, v4, v0
	v_mul_lo_u32 v2, v0, s29
	s_andn2_b64 vcc, exec, s[42:43]
	v_mul_lo_u32 v0, v0, s28
	s_cbranch_vccnz .LBB16_136
; %bb.135:
	v_mul_hi_u32 v3, s40, v1
	v_add_u32_e32 v3, v1, v3
	v_lshrrev_b32_e32 v3, s41, v3
	v_mul_lo_u32 v3, v3, s39
	v_sub_u32_e32 v3, v1, v3
	v_mad_u64_u32 v[0:1], s[0:1], v3, s30, v[0:1]
	v_mad_u64_u32 v[2:3], s[0:1], v3, s31, v[2:3]
.LBB16_136:
	s_waitcnt lgkmcnt(0)
	global_load_dword v1, v2, s[26:27]
	s_mov_b32 s0, 0x41000000
                                        ; implicit-def: $vgpr2
	s_waitcnt vmcnt(0)
	v_cmp_le_f32_e64 s[0:1], |v1|, s0
	s_and_saveexec_b64 s[2:3], s[0:1]
	s_xor_b64 s[0:1], exec, s[2:3]
	s_cbranch_execz .LBB16_138
; %bb.137:
	v_fma_f32 v2, |v1|, 0.5, -2.0
	v_mov_b32_e32 v3, 0x24199b15
	v_fmac_f32_e32 v3, 0xa2a2e5b9, v2
	v_mov_b32_e32 v5, 0x22a2e5b9
	v_fmac_f32_e32 v5, v2, v3
	v_add_f32_e32 v5, 0xa58c275c, v5
	v_fma_f32 v3, v2, v5, -v3
	v_add_f32_e32 v3, 0x26f736c5, v3
	v_fma_f32 v5, v2, v3, -v5
	;; [unrolled: 2-line block ×22, first 2 shown]
	v_add_f32_e32 v5, 0xbcc274f8, v5
	s_mov_b32 s2, 0x3fb8aa3b
	v_fma_f32 v3, v2, v5, -v3
	v_mul_f32_e64 v6, |v1|, s2
	v_add_f32_e32 v3, 0x3d49f456, v3
	v_rndne_f32_e32 v7, v6
	v_fma_f32 v5, v2, v3, -v5
	v_sub_f32_e32 v8, v6, v7
	v_fma_f32 v6, |v1|, s2, -v6
	s_mov_b32 s2, 0x32a5705f
	v_add_f32_e32 v5, 0xbdc25b82, v5
	v_fma_f32 v6, |v1|, s2, v6
	v_fma_f32 v3, v2, v5, -v3
	v_add_f32_e32 v6, v8, v6
	v_add_f32_e32 v3, 0x3e2fbd64, v3
	v_exp_f32_e32 v6, v6
	v_cvt_i32_f32_e32 v7, v7
	v_fma_f32 v5, v2, v3, -v5
	v_add_f32_e32 v5, 0xbe9bff5e, v5
	v_fma_f32 v2, v2, v5, -v3
	s_mov_b32 s2, 0xc2ce8ed0
	v_add_f32_e32 v2, 0x3f2d4275, v2
	v_ldexp_f32 v5, v6, v7
	v_cmp_nlt_f32_e64 vcc, |v1|, s2
	s_mov_b32 s2, 0x42b17218
	v_cndmask_b32_e32 v5, 0, v5, vcc
	v_mov_b32_e32 v6, 0x7f800000
	v_cmp_ngt_f32_e64 vcc, |v1|, s2
	v_sub_f32_e32 v2, v2, v3
	v_cndmask_b32_e32 v1, v6, v5, vcc
	v_mul_f32_e32 v2, 0.5, v2
	v_mul_f32_e32 v2, v1, v2
                                        ; implicit-def: $vgpr1
.LBB16_138:
	s_andn2_saveexec_b64 s[2:3], s[0:1]
	s_cbranch_execz .LBB16_140
; %bb.139:
	v_and_b32_e32 v2, 0x7fffffff, v1
	s_mov_b32 s8, 0x42000000
	v_div_scale_f32 v3, s[0:1], v2, v2, s8
	v_rcp_f32_e32 v5, v3
	v_div_scale_f32 v2, vcc, s8, v2, s8
	s_mov_b32 s0, 0x3fb8aa3b
	v_fma_f32 v6, -v3, v5, 1.0
	v_fmac_f32_e32 v5, v6, v5
	v_mul_f32_e32 v6, v2, v5
	v_fma_f32 v7, -v3, v6, v2
	v_fmac_f32_e32 v6, v7, v5
	v_fma_f32 v2, -v3, v6, v2
	v_div_fmas_f32 v2, v2, v5, v6
	v_div_fixup_f32 v2, v2, |v1|, s8
	v_add_f32_e32 v2, -2.0, v2
	v_mov_b32_e32 v3, 0xa2b236d3
	v_fmac_f32_e32 v3, 0xa3056dbb, v2
	v_mov_b32_e32 v5, 0x23056dbb
	v_fmac_f32_e32 v5, v2, v3
	v_add_f32_e32 v5, 0x244df0c1, v5
	v_fma_f32 v3, v2, v5, -v3
	v_add_f32_e32 v3, 0x241f9ee8, v3
	v_fma_f32 v5, v2, v3, -v5
	v_add_f32_e32 v5, 0xa5a3005d, v5
	v_fma_f32 v3, v2, v5, -v3
	v_add_f32_e32 v3, 0xa5c5773f, v3
	v_fma_f32 v5, v2, v3, -v5
	v_add_f32_e32 v5, 0x26ff73ed, v5
	v_fma_f32 v3, v2, v5, -v3
	v_add_f32_e32 v3, 0x2789548d, v3
	v_fma_f32 v5, v2, v3, -v5
	v_add_f32_e32 v5, 0xa82c1ff4, v5
	v_fma_f32 v3, v2, v5, -v3
	v_add_f32_e32 v3, 0xa93aecce, v3
	v_fma_f32 v5, v2, v3, -v5
	v_add_f32_e32 v5, 0x288ab7f8, v5
	v_fma_f32 v3, v2, v5, -v3
	v_add_f32_e32 v3, 0x2ad8e463, v3
	v_fma_f32 v5, v2, v3, -v5
	v_add_f32_e32 v5, 0x2b4a1a40, v5
	v_fma_f32 v3, v2, v5, -v3
	v_add_f32_e32 v3, 0xabfc8218, v3
	v_fma_f32 v5, v2, v3, -v5
	v_add_f32_e32 v5, 0xad687eba, v5
	v_fma_f32 v3, v2, v5, -v3
	v_add_f32_e32 v3, 0xae0a88e8, v3
	v_fma_f32 v5, v2, v3, -v5
	v_add_f32_e32 v5, 0x2d5127f5, v5
	v_fma_f32 v3, v2, v5, -v3
	v_add_f32_e32 v3, 0x3007ce66, v3
	v_fma_f32 v5, v2, v3, -v5
	v_add_f32_e32 v5, 0x31696325, v5
	v_fma_f32 v3, v2, v5, -v3
	v_add_f32_e32 v3, 0x32c2b494, v3
	v_mul_f32_e64 v6, |v1|, s0
	v_fma_f32 v5, v2, v3, -v5
	v_rndne_f32_e32 v7, v6
	v_add_f32_e32 v5, 0x345c003f, v5
	v_sub_f32_e32 v8, v6, v7
	v_fma_f32 v6, |v1|, s0, -v6
	s_mov_b32 s0, 0x32a5705f
	v_fma_f32 v3, v2, v5, -v3
	v_fma_f32 v6, |v1|, s0, v6
	v_add_f32_e32 v3, 0x3642095e, v3
	v_add_f32_e32 v6, v8, v6
	v_fma_f32 v5, v2, v3, -v5
	v_exp_f32_e32 v6, v6
	v_cvt_i32_f32_e32 v7, v7
	v_add_f32_e32 v5, 0x38907d1c, v5
	v_fma_f32 v3, v2, v5, -v3
	v_add_f32_e32 v3, 0x3b5ccc65, v3
	s_mov_b32 s0, 0xc2ce8ed0
	v_fma_f32 v2, v2, v3, -v5
	v_ldexp_f32 v3, v6, v7
	v_cmp_nlt_f32_e64 vcc, |v1|, s0
	s_mov_b32 s0, 0x42b17218
	v_cndmask_b32_e32 v3, 0, v3, vcc
	v_mov_b32_e32 v6, 0x7f800000
	v_cmp_ngt_f32_e64 vcc, |v1|, s0
	s_mov_b32 s0, 0xf800000
	s_mov_b32 s1, 0x4f800000
	v_cndmask_b32_e32 v3, v6, v3, vcc
	v_mul_f32_e64 v6, |v1|, s1
	v_cmp_lt_f32_e64 vcc, |v1|, s0
	v_cndmask_b32_e64 v1, |v1|, v6, vcc
	v_sqrt_f32_e32 v6, v1
	v_add_f32_e32 v2, 0x3f4df315, v2
	v_sub_f32_e32 v2, v2, v5
	v_mul_f32_e32 v2, 0.5, v2
	v_mul_f32_e32 v2, v3, v2
	v_add_u32_e32 v3, -1, v6
	v_fma_f32 v5, -v3, v6, v1
	v_cmp_ge_f32_e64 s[0:1], 0, v5
	v_add_u32_e32 v5, 1, v6
	v_cndmask_b32_e64 v3, v6, v3, s[0:1]
	v_fma_f32 v6, -v5, v6, v1
	v_cmp_lt_f32_e64 s[0:1], 0, v6
	v_cndmask_b32_e64 v3, v3, v5, s[0:1]
	v_mul_f32_e32 v5, 0x37800000, v3
	v_cndmask_b32_e32 v3, v3, v5, vcc
	v_mov_b32_e32 v5, 0x260
	v_cmp_class_f32_e32 vcc, v1, v5
	v_cndmask_b32_e32 v1, v3, v1, vcc
	v_div_scale_f32 v3, s[0:1], v1, v1, v2
	v_rcp_f32_e32 v5, v3
	v_fma_f32 v6, -v3, v5, 1.0
	v_fmac_f32_e32 v5, v6, v5
	v_div_scale_f32 v6, vcc, v2, v1, v2
	v_mul_f32_e32 v7, v6, v5
	v_fma_f32 v8, -v3, v7, v6
	v_fmac_f32_e32 v7, v8, v5
	v_fma_f32 v3, -v3, v7, v6
	v_div_fmas_f32 v3, v3, v5, v7
	v_div_fixup_f32 v2, v3, v1, v2
.LBB16_140:
	s_or_b64 exec, exec, s[2:3]
	v_add_u32_e32 v4, 0x80, v4
	global_store_dword v0, v2, s[24:25]
	s_or_b64 exec, exec, s[48:49]
	v_cmp_gt_i32_e32 vcc, s57, v4
	s_and_saveexec_b64 s[48:49], vcc
	s_cbranch_execz .LBB16_126
.LBB16_141:
	s_andn2_b64 vcc, exec, s[6:7]
	s_cbranch_vccnz .LBB16_147
; %bb.142:
	s_mov_b32 s50, 0
	s_andn2_b64 vcc, exec, s[46:47]
	v_mov_b32_e32 v2, 0
	v_mov_b32_e32 v0, 0
	s_cbranch_vccnz .LBB16_153
; %bb.143:
	s_add_i32 s58, s58, 1
	s_cmp_eq_u32 s56, 2
	s_cbranch_scc1 .LBB16_148
; %bb.144:
	s_and_b32 s50, s58, 28
	s_mov_b32 s51, 0
	v_mov_b32_e32 v0, 0
	s_mov_b64 s[46:47], s[4:5]
	v_mov_b32_e32 v3, v4
	v_mov_b32_e32 v2, 0
.LBB16_145:                             ; =>This Inner Loop Header: Depth=1
	s_load_dwordx8 s[16:23], s[46:47], 0x4
	s_load_dwordx4 s[0:3], s[46:47], 0x24
	s_load_dwordx8 s[8:15], s[44:45], 0x0
	s_add_u32 s46, s46, 48
	s_addc_u32 s47, s47, 0
	s_waitcnt lgkmcnt(0)
	v_mul_hi_u32 v1, s17, v3
	v_add_u32_e32 v1, v3, v1
	v_lshrrev_b32_e32 v1, s18, v1
	v_mul_lo_u32 v5, v1, s16
	v_mul_hi_u32 v6, s20, v1
	v_sub_u32_e32 v3, v3, v5
	v_add_u32_e32 v5, v1, v6
	v_lshrrev_b32_e32 v5, s21, v5
	v_mul_lo_u32 v7, v5, s19
	v_mul_hi_u32 v8, s23, v5
	v_sub_u32_e32 v1, v1, v7
	v_add_u32_e32 v7, v5, v8
	v_mul_lo_u32 v6, v3, s9
	v_mul_lo_u32 v3, v3, s8
	;; [unrolled: 1-line block ×4, first 2 shown]
	v_lshrrev_b32_e32 v7, s0, v7
	v_add3_u32 v0, v3, v0, v1
	v_mul_hi_u32 v3, s2, v7
	v_add_u32_e32 v3, v7, v3
	v_lshrrev_b32_e32 v3, s3, v3
	s_add_i32 s51, s51, 4
	v_add3_u32 v1, v6, v2, v8
	v_mul_lo_u32 v2, v7, s22
	v_mul_lo_u32 v6, v3, s1
	s_add_u32 s44, s44, 32
	v_sub_u32_e32 v2, v5, v2
	v_sub_u32_e32 v6, v7, v6
	s_addc_u32 s45, s45, 0
	v_mul_lo_u32 v5, v2, s12
	v_mul_lo_u32 v2, v2, s13
	;; [unrolled: 1-line block ×4, first 2 shown]
	s_cmp_eq_u32 s50, s51
	v_add3_u32 v2, v2, v1, v6
	v_add3_u32 v0, v5, v0, v7
	s_cbranch_scc0 .LBB16_145
; %bb.146:
	v_mov_b32_e32 v1, v2
	s_branch .LBB16_149
.LBB16_147:
                                        ; implicit-def: $vgpr2
                                        ; implicit-def: $vgpr0
	s_branch .LBB16_154
.LBB16_148:
	s_mov_b32 s51, s50
	v_pk_mov_b32 v[0:1], s[50:51], s[50:51] op_sel:[0,1]
                                        ; implicit-def: $vgpr2
	v_mov_b32_e32 v3, v4
.LBB16_149:
	s_and_b32 s8, s58, 3
	s_cmp_eq_u32 s8, 0
	s_cbranch_scc1 .LBB16_153
; %bb.150:
	s_lshl_b32 s0, s50, 3
	s_add_u32 s0, s0, s4
	s_addc_u32 s1, s5, 0
	s_add_u32 s0, s0, 0xc4
	s_addc_u32 s1, s1, 0
	s_mul_i32 s2, s50, 12
	s_add_u32 s2, s4, s2
	s_addc_u32 s3, s5, 0
.LBB16_151:                             ; =>This Inner Loop Header: Depth=1
	s_load_dwordx2 s[10:11], s[2:3], 0x4
	s_load_dword s9, s[2:3], 0xc
	s_load_dwordx2 s[12:13], s[0:1], 0x0
	v_mov_b32_e32 v2, v1
	s_add_u32 s2, s2, 12
	s_waitcnt lgkmcnt(0)
	v_mul_hi_u32 v1, s11, v3
	v_add_u32_e32 v1, v3, v1
	v_lshrrev_b32_e32 v1, s9, v1
	s_addc_u32 s3, s3, 0
	v_mul_lo_u32 v5, v1, s10
	s_add_u32 s0, s0, 8
	v_sub_u32_e32 v5, v3, v5
	v_mov_b32_e32 v3, v1
	s_addc_u32 s1, s1, 0
	s_add_i32 s8, s8, -1
	v_mad_u64_u32 v[6:7], s[10:11], v5, s13, v[2:3]
	v_mad_u64_u32 v[0:1], s[10:11], v5, s12, v[0:1]
	s_cmp_lg_u32 s8, 0
	v_mov_b32_e32 v1, v6
	s_cbranch_scc1 .LBB16_151
; %bb.152:
	v_mov_b32_e32 v2, v1
.LBB16_153:
	s_cbranch_execnz .LBB16_156
.LBB16_154:
	s_waitcnt lgkmcnt(0)
	v_mul_hi_u32 v0, s37, v4
	v_add_u32_e32 v0, v4, v0
	v_lshrrev_b32_e32 v1, s38, v0
	v_mul_lo_u32 v0, v1, s36
	v_sub_u32_e32 v0, v4, v0
	v_mul_lo_u32 v2, v0, s29
	s_andn2_b64 vcc, exec, s[42:43]
	v_mul_lo_u32 v0, v0, s28
	s_cbranch_vccnz .LBB16_156
; %bb.155:
	v_mul_hi_u32 v3, s40, v1
	v_add_u32_e32 v3, v1, v3
	v_lshrrev_b32_e32 v3, s41, v3
	v_mul_lo_u32 v3, v3, s39
	v_sub_u32_e32 v3, v1, v3
	v_mad_u64_u32 v[0:1], s[0:1], v3, s30, v[0:1]
	v_mad_u64_u32 v[2:3], s[0:1], v3, s31, v[2:3]
.LBB16_156:
	s_waitcnt lgkmcnt(0)
	global_load_dword v1, v2, s[26:27]
	s_mov_b32 s0, 0x41000000
                                        ; implicit-def: $vgpr2
	s_waitcnt vmcnt(0)
	v_cmp_le_f32_e64 s[0:1], |v1|, s0
	s_and_saveexec_b64 s[2:3], s[0:1]
	s_xor_b64 s[0:1], exec, s[2:3]
	s_cbranch_execz .LBB16_158
; %bb.157:
	v_fma_f32 v2, |v1|, 0.5, -2.0
	v_mov_b32_e32 v3, 0x24199b15
	v_fmac_f32_e32 v3, 0xa2a2e5b9, v2
	v_mov_b32_e32 v4, 0x22a2e5b9
	v_fmac_f32_e32 v4, v2, v3
	v_add_f32_e32 v4, 0xa58c275c, v4
	v_fma_f32 v3, v2, v4, -v3
	v_add_f32_e32 v3, 0x26f736c5, v3
	v_fma_f32 v4, v2, v3, -v4
	;; [unrolled: 2-line block ×22, first 2 shown]
	v_add_f32_e32 v4, 0xbcc274f8, v4
	s_mov_b32 s2, 0x3fb8aa3b
	v_fma_f32 v3, v2, v4, -v3
	v_mul_f32_e64 v5, |v1|, s2
	v_add_f32_e32 v3, 0x3d49f456, v3
	v_rndne_f32_e32 v6, v5
	v_fma_f32 v4, v2, v3, -v4
	v_sub_f32_e32 v7, v5, v6
	v_fma_f32 v5, |v1|, s2, -v5
	s_mov_b32 s2, 0x32a5705f
	v_add_f32_e32 v4, 0xbdc25b82, v4
	v_fma_f32 v5, |v1|, s2, v5
	v_fma_f32 v3, v2, v4, -v3
	v_add_f32_e32 v5, v7, v5
	v_add_f32_e32 v3, 0x3e2fbd64, v3
	v_exp_f32_e32 v5, v5
	v_cvt_i32_f32_e32 v6, v6
	v_fma_f32 v4, v2, v3, -v4
	v_add_f32_e32 v4, 0xbe9bff5e, v4
	v_fma_f32 v2, v2, v4, -v3
	s_mov_b32 s2, 0xc2ce8ed0
	v_add_f32_e32 v2, 0x3f2d4275, v2
	v_ldexp_f32 v4, v5, v6
	v_cmp_nlt_f32_e64 vcc, |v1|, s2
	s_mov_b32 s2, 0x42b17218
	v_cndmask_b32_e32 v4, 0, v4, vcc
	v_mov_b32_e32 v5, 0x7f800000
	v_cmp_ngt_f32_e64 vcc, |v1|, s2
	v_sub_f32_e32 v2, v2, v3
	v_cndmask_b32_e32 v1, v5, v4, vcc
	v_mul_f32_e32 v2, 0.5, v2
	v_mul_f32_e32 v2, v1, v2
                                        ; implicit-def: $vgpr1
.LBB16_158:
	s_andn2_saveexec_b64 s[2:3], s[0:1]
	s_cbranch_execz .LBB16_160
; %bb.159:
	v_and_b32_e32 v2, 0x7fffffff, v1
	s_mov_b32 s8, 0x42000000
	v_div_scale_f32 v3, s[0:1], v2, v2, s8
	v_rcp_f32_e32 v4, v3
	v_div_scale_f32 v2, vcc, s8, v2, s8
	s_mov_b32 s0, 0x3fb8aa3b
	v_fma_f32 v5, -v3, v4, 1.0
	v_fmac_f32_e32 v4, v5, v4
	v_mul_f32_e32 v5, v2, v4
	v_fma_f32 v6, -v3, v5, v2
	v_fmac_f32_e32 v5, v6, v4
	v_fma_f32 v2, -v3, v5, v2
	v_div_fmas_f32 v2, v2, v4, v5
	v_div_fixup_f32 v2, v2, |v1|, s8
	v_add_f32_e32 v2, -2.0, v2
	v_mov_b32_e32 v3, 0xa2b236d3
	v_fmac_f32_e32 v3, 0xa3056dbb, v2
	v_mov_b32_e32 v4, 0x23056dbb
	v_fmac_f32_e32 v4, v2, v3
	v_add_f32_e32 v4, 0x244df0c1, v4
	v_fma_f32 v3, v2, v4, -v3
	v_add_f32_e32 v3, 0x241f9ee8, v3
	v_fma_f32 v4, v2, v3, -v4
	;; [unrolled: 2-line block ×17, first 2 shown]
	v_add_f32_e32 v3, 0x32c2b494, v3
	v_mul_f32_e64 v5, |v1|, s0
	v_fma_f32 v4, v2, v3, -v4
	v_rndne_f32_e32 v6, v5
	v_add_f32_e32 v4, 0x345c003f, v4
	v_sub_f32_e32 v7, v5, v6
	v_fma_f32 v5, |v1|, s0, -v5
	s_mov_b32 s0, 0x32a5705f
	v_fma_f32 v3, v2, v4, -v3
	v_fma_f32 v5, |v1|, s0, v5
	v_add_f32_e32 v3, 0x3642095e, v3
	v_add_f32_e32 v5, v7, v5
	v_fma_f32 v4, v2, v3, -v4
	v_exp_f32_e32 v5, v5
	v_cvt_i32_f32_e32 v6, v6
	v_add_f32_e32 v4, 0x38907d1c, v4
	v_fma_f32 v3, v2, v4, -v3
	v_add_f32_e32 v3, 0x3b5ccc65, v3
	s_mov_b32 s0, 0xc2ce8ed0
	v_fma_f32 v2, v2, v3, -v4
	v_ldexp_f32 v3, v5, v6
	v_cmp_nlt_f32_e64 vcc, |v1|, s0
	s_mov_b32 s0, 0x42b17218
	v_cndmask_b32_e32 v3, 0, v3, vcc
	v_mov_b32_e32 v5, 0x7f800000
	v_cmp_ngt_f32_e64 vcc, |v1|, s0
	s_mov_b32 s0, 0xf800000
	s_mov_b32 s1, 0x4f800000
	v_cndmask_b32_e32 v3, v5, v3, vcc
	v_mul_f32_e64 v5, |v1|, s1
	v_cmp_lt_f32_e64 vcc, |v1|, s0
	v_cndmask_b32_e64 v1, |v1|, v5, vcc
	v_sqrt_f32_e32 v5, v1
	v_add_f32_e32 v2, 0x3f4df315, v2
	v_sub_f32_e32 v2, v2, v4
	v_mul_f32_e32 v2, 0.5, v2
	v_mul_f32_e32 v2, v3, v2
	v_add_u32_e32 v3, -1, v5
	v_fma_f32 v4, -v3, v5, v1
	v_cmp_ge_f32_e64 s[0:1], 0, v4
	v_add_u32_e32 v4, 1, v5
	v_cndmask_b32_e64 v3, v5, v3, s[0:1]
	v_fma_f32 v5, -v4, v5, v1
	v_cmp_lt_f32_e64 s[0:1], 0, v5
	v_cndmask_b32_e64 v3, v3, v4, s[0:1]
	v_mul_f32_e32 v4, 0x37800000, v3
	v_cndmask_b32_e32 v3, v3, v4, vcc
	v_mov_b32_e32 v4, 0x260
	v_cmp_class_f32_e32 vcc, v1, v4
	v_cndmask_b32_e32 v1, v3, v1, vcc
	v_div_scale_f32 v3, s[0:1], v1, v1, v2
	v_rcp_f32_e32 v4, v3
	v_fma_f32 v5, -v3, v4, 1.0
	v_fmac_f32_e32 v4, v5, v4
	v_div_scale_f32 v5, vcc, v2, v1, v2
	v_mul_f32_e32 v6, v5, v4
	v_fma_f32 v7, -v3, v6, v5
	v_fmac_f32_e32 v6, v7, v4
	v_fma_f32 v3, -v3, v6, v5
	v_div_fmas_f32 v3, v3, v4, v6
	v_div_fixup_f32 v2, v3, v1, v2
.LBB16_160:
	s_or_b64 exec, exec, s[2:3]
	global_store_dword v0, v2, s[24:25]
	s_or_b64 exec, exec, s[48:49]
                                        ; implicit-def: $vgpr15
                                        ; implicit-def: $vgpr4
	s_andn2_saveexec_b64 s[0:1], s[34:35]
	s_cbranch_execz .LBB16_127
	s_branch .LBB16_9
	.section	.rodata,"a",@progbits
	.p2align	6, 0x0
	.amdhsa_kernel _ZN2at6native32elementwise_kernel_manual_unrollILi128ELi4EZNS0_22gpu_kernel_impl_nocastIZZZNS0_12_GLOBAL__N_130modified_bessel_i0_kernel_cudaERNS_18TensorIteratorBaseEENKUlvE_clEvENKUlvE0_clEvEUlfE_EEvS5_RKT_EUlibE_EEviT1_
		.amdhsa_group_segment_fixed_size 0
		.amdhsa_private_segment_fixed_size 0
		.amdhsa_kernarg_size 360
		.amdhsa_user_sgpr_count 6
		.amdhsa_user_sgpr_private_segment_buffer 1
		.amdhsa_user_sgpr_dispatch_ptr 0
		.amdhsa_user_sgpr_queue_ptr 0
		.amdhsa_user_sgpr_kernarg_segment_ptr 1
		.amdhsa_user_sgpr_dispatch_id 0
		.amdhsa_user_sgpr_flat_scratch_init 0
		.amdhsa_user_sgpr_kernarg_preload_length 0
		.amdhsa_user_sgpr_kernarg_preload_offset 0
		.amdhsa_user_sgpr_private_segment_size 0
		.amdhsa_uses_dynamic_stack 0
		.amdhsa_system_sgpr_private_segment_wavefront_offset 0
		.amdhsa_system_sgpr_workgroup_id_x 1
		.amdhsa_system_sgpr_workgroup_id_y 0
		.amdhsa_system_sgpr_workgroup_id_z 0
		.amdhsa_system_sgpr_workgroup_info 0
		.amdhsa_system_vgpr_workitem_id 0
		.amdhsa_next_free_vgpr 18
		.amdhsa_next_free_sgpr 60
		.amdhsa_accum_offset 20
		.amdhsa_reserve_vcc 1
		.amdhsa_reserve_flat_scratch 0
		.amdhsa_float_round_mode_32 0
		.amdhsa_float_round_mode_16_64 0
		.amdhsa_float_denorm_mode_32 3
		.amdhsa_float_denorm_mode_16_64 3
		.amdhsa_dx10_clamp 1
		.amdhsa_ieee_mode 1
		.amdhsa_fp16_overflow 0
		.amdhsa_tg_split 0
		.amdhsa_exception_fp_ieee_invalid_op 0
		.amdhsa_exception_fp_denorm_src 0
		.amdhsa_exception_fp_ieee_div_zero 0
		.amdhsa_exception_fp_ieee_overflow 0
		.amdhsa_exception_fp_ieee_underflow 0
		.amdhsa_exception_fp_ieee_inexact 0
		.amdhsa_exception_int_div_zero 0
	.end_amdhsa_kernel
	.section	.text._ZN2at6native32elementwise_kernel_manual_unrollILi128ELi4EZNS0_22gpu_kernel_impl_nocastIZZZNS0_12_GLOBAL__N_130modified_bessel_i0_kernel_cudaERNS_18TensorIteratorBaseEENKUlvE_clEvENKUlvE0_clEvEUlfE_EEvS5_RKT_EUlibE_EEviT1_,"axG",@progbits,_ZN2at6native32elementwise_kernel_manual_unrollILi128ELi4EZNS0_22gpu_kernel_impl_nocastIZZZNS0_12_GLOBAL__N_130modified_bessel_i0_kernel_cudaERNS_18TensorIteratorBaseEENKUlvE_clEvENKUlvE0_clEvEUlfE_EEvS5_RKT_EUlibE_EEviT1_,comdat
.Lfunc_end16:
	.size	_ZN2at6native32elementwise_kernel_manual_unrollILi128ELi4EZNS0_22gpu_kernel_impl_nocastIZZZNS0_12_GLOBAL__N_130modified_bessel_i0_kernel_cudaERNS_18TensorIteratorBaseEENKUlvE_clEvENKUlvE0_clEvEUlfE_EEvS5_RKT_EUlibE_EEviT1_, .Lfunc_end16-_ZN2at6native32elementwise_kernel_manual_unrollILi128ELi4EZNS0_22gpu_kernel_impl_nocastIZZZNS0_12_GLOBAL__N_130modified_bessel_i0_kernel_cudaERNS_18TensorIteratorBaseEENKUlvE_clEvENKUlvE0_clEvEUlfE_EEvS5_RKT_EUlibE_EEviT1_
                                        ; -- End function
	.section	.AMDGPU.csdata,"",@progbits
; Kernel info:
; codeLenInByte = 17436
; NumSgprs: 64
; NumVgprs: 18
; NumAgprs: 0
; TotalNumVgprs: 18
; ScratchSize: 0
; MemoryBound: 0
; FloatMode: 240
; IeeeMode: 1
; LDSByteSize: 0 bytes/workgroup (compile time only)
; SGPRBlocks: 7
; VGPRBlocks: 2
; NumSGPRsForWavesPerEU: 64
; NumVGPRsForWavesPerEU: 18
; AccumOffset: 20
; Occupancy: 8
; WaveLimiterHint : 1
; COMPUTE_PGM_RSRC2:SCRATCH_EN: 0
; COMPUTE_PGM_RSRC2:USER_SGPR: 6
; COMPUTE_PGM_RSRC2:TRAP_HANDLER: 0
; COMPUTE_PGM_RSRC2:TGID_X_EN: 1
; COMPUTE_PGM_RSRC2:TGID_Y_EN: 0
; COMPUTE_PGM_RSRC2:TGID_Z_EN: 0
; COMPUTE_PGM_RSRC2:TIDIG_COMP_CNT: 0
; COMPUTE_PGM_RSRC3_GFX90A:ACCUM_OFFSET: 4
; COMPUTE_PGM_RSRC3_GFX90A:TG_SPLIT: 0
	.section	.text._ZN2at6native32elementwise_kernel_manual_unrollILi128ELi4EZNS0_15gpu_kernel_implIZZZNS0_12_GLOBAL__N_130modified_bessel_i0_kernel_cudaERNS_18TensorIteratorBaseEENKUlvE_clEvENKUlvE0_clEvEUlfE_EEvS5_RKT_EUlibE_EEviT1_,"axG",@progbits,_ZN2at6native32elementwise_kernel_manual_unrollILi128ELi4EZNS0_15gpu_kernel_implIZZZNS0_12_GLOBAL__N_130modified_bessel_i0_kernel_cudaERNS_18TensorIteratorBaseEENKUlvE_clEvENKUlvE0_clEvEUlfE_EEvS5_RKT_EUlibE_EEviT1_,comdat
	.globl	_ZN2at6native32elementwise_kernel_manual_unrollILi128ELi4EZNS0_15gpu_kernel_implIZZZNS0_12_GLOBAL__N_130modified_bessel_i0_kernel_cudaERNS_18TensorIteratorBaseEENKUlvE_clEvENKUlvE0_clEvEUlfE_EEvS5_RKT_EUlibE_EEviT1_ ; -- Begin function _ZN2at6native32elementwise_kernel_manual_unrollILi128ELi4EZNS0_15gpu_kernel_implIZZZNS0_12_GLOBAL__N_130modified_bessel_i0_kernel_cudaERNS_18TensorIteratorBaseEENKUlvE_clEvENKUlvE0_clEvEUlfE_EEvS5_RKT_EUlibE_EEviT1_
	.p2align	8
	.type	_ZN2at6native32elementwise_kernel_manual_unrollILi128ELi4EZNS0_15gpu_kernel_implIZZZNS0_12_GLOBAL__N_130modified_bessel_i0_kernel_cudaERNS_18TensorIteratorBaseEENKUlvE_clEvENKUlvE0_clEvEUlfE_EEvS5_RKT_EUlibE_EEviT1_,@function
_ZN2at6native32elementwise_kernel_manual_unrollILi128ELi4EZNS0_15gpu_kernel_implIZZZNS0_12_GLOBAL__N_130modified_bessel_i0_kernel_cudaERNS_18TensorIteratorBaseEENKUlvE_clEvENKUlvE0_clEvEUlfE_EEvS5_RKT_EUlibE_EEviT1_: ; @_ZN2at6native32elementwise_kernel_manual_unrollILi128ELi4EZNS0_15gpu_kernel_implIZZZNS0_12_GLOBAL__N_130modified_bessel_i0_kernel_cudaERNS_18TensorIteratorBaseEENKUlvE_clEvENKUlvE0_clEvEUlfE_EEvS5_RKT_EUlibE_EEviT1_
; %bb.0:
	v_mov_b32_e32 v1, 0
	global_load_ushort v10, v1, s[4:5] offset:33
	s_load_dwordx4 s[8:11], s[4:5], 0x8
	s_load_dwordx2 s[12:13], s[4:5], 0x18
	s_load_dword s33, s[4:5], 0x0
	v_lshl_or_b32 v8, s6, 9, v0
	v_or_b32_e32 v0, 0x180, v8
	s_mov_b64 s[2:3], 0
	s_mov_b64 s[6:7], 0
	s_waitcnt lgkmcnt(0)
	v_cmp_le_i32_e32 vcc, s33, v0
	s_waitcnt vmcnt(0)
	v_lshrrev_b16_e32 v9, 8, v10
	s_and_saveexec_b64 s[0:1], vcc
	s_xor_b64 s[4:5], exec, s[0:1]
	s_cbranch_execz .LBB17_1043
; %bb.1:
	v_cmp_gt_i32_e32 vcc, s33, v8
	s_mov_b64 s[18:19], -1
	s_mov_b64 s[20:21], 0
	s_mov_b64 s[14:15], 0
	s_and_saveexec_b64 s[16:17], vcc
	s_cbranch_execz .LBB17_256
; %bb.2:
	v_mul_lo_u32 v0, v8, s13
	v_ashrrev_i32_e32 v1, 31, v0
	v_mov_b32_e32 v2, s11
	v_add_co_u32_e32 v0, vcc, s10, v0
	v_addc_co_u32_e32 v1, vcc, v2, v1, vcc
	v_cmp_gt_i16_e32 vcc, 11, v9
	s_cbranch_vccnz .LBB17_9
; %bb.3:
	v_cmp_lt_i16_e32 vcc, 25, v9
	s_cbranch_vccz .LBB17_22
; %bb.4:
	v_cmp_lt_i16_e32 vcc, 28, v9
	s_cbranch_vccz .LBB17_26
	;; [unrolled: 3-line block ×4, first 2 shown]
; %bb.7:
	v_cmp_eq_u16_e32 vcc, 46, v9
	s_cbranch_vccz .LBB17_32
; %bb.8:
	global_load_dword v2, v[0:1], off
	s_mov_b64 s[0:1], -1
	s_waitcnt vmcnt(0)
	v_lshlrev_b32_e32 v2, 16, v2
	s_branch .LBB17_34
.LBB17_9:
                                        ; implicit-def: $vgpr2
	s_mov_b64 s[0:1], 0
	s_cbranch_execnz .LBB17_207
.LBB17_10:
	s_andn2_b64 vcc, exec, s[0:1]
	s_cbranch_vccnz .LBB17_254
.LBB17_11:
	s_mov_b32 s0, 0x41000000
	s_waitcnt vmcnt(0)
	v_cmp_le_f32_e64 s[0:1], |v2|, s0
                                        ; implicit-def: $vgpr0
	s_and_saveexec_b64 s[6:7], s[0:1]
	s_xor_b64 s[0:1], exec, s[6:7]
	s_cbranch_execz .LBB17_13
; %bb.12:
	v_fma_f32 v0, |v2|, 0.5, -2.0
	v_mov_b32_e32 v1, 0x24199b15
	v_fmac_f32_e32 v1, 0xa2a2e5b9, v0
	v_mov_b32_e32 v3, 0x22a2e5b9
	v_fmac_f32_e32 v3, v0, v1
	v_add_f32_e32 v3, 0xa58c275c, v3
	v_fma_f32 v1, v0, v3, -v1
	v_add_f32_e32 v1, 0x26f736c5, v1
	v_fma_f32 v3, v0, v1, -v3
	;; [unrolled: 2-line block ×22, first 2 shown]
	v_add_f32_e32 v3, 0xbcc274f8, v3
	s_mov_b32 s6, 0x3fb8aa3b
	v_fma_f32 v1, v0, v3, -v1
	v_mul_f32_e64 v4, |v2|, s6
	v_add_f32_e32 v1, 0x3d49f456, v1
	v_rndne_f32_e32 v5, v4
	v_fma_f32 v3, v0, v1, -v3
	v_sub_f32_e32 v6, v4, v5
	v_fma_f32 v4, |v2|, s6, -v4
	s_mov_b32 s6, 0x32a5705f
	v_add_f32_e32 v3, 0xbdc25b82, v3
	v_fma_f32 v4, |v2|, s6, v4
	v_fma_f32 v1, v0, v3, -v1
	v_add_f32_e32 v4, v6, v4
	v_add_f32_e32 v1, 0x3e2fbd64, v1
	v_exp_f32_e32 v4, v4
	v_cvt_i32_f32_e32 v5, v5
	v_fma_f32 v3, v0, v1, -v3
	v_add_f32_e32 v3, 0xbe9bff5e, v3
	v_fma_f32 v0, v0, v3, -v1
	s_mov_b32 s6, 0xc2ce8ed0
	v_add_f32_e32 v0, 0x3f2d4275, v0
	v_ldexp_f32 v3, v4, v5
	v_cmp_nlt_f32_e64 vcc, |v2|, s6
	s_mov_b32 s6, 0x42b17218
	v_cndmask_b32_e32 v3, 0, v3, vcc
	v_mov_b32_e32 v4, 0x7f800000
	v_cmp_ngt_f32_e64 vcc, |v2|, s6
	v_sub_f32_e32 v0, v0, v1
	v_cndmask_b32_e32 v2, v4, v3, vcc
	v_mul_f32_e32 v0, 0.5, v0
	v_mul_f32_e32 v0, v2, v0
                                        ; implicit-def: $vgpr2
.LBB17_13:
	s_andn2_saveexec_b64 s[6:7], s[0:1]
	s_cbranch_execz .LBB17_15
; %bb.14:
	v_and_b32_e32 v0, 0x7fffffff, v2
	s_mov_b32 s18, 0x42000000
	v_div_scale_f32 v1, s[0:1], v0, v0, s18
	v_rcp_f32_e32 v3, v1
	v_div_scale_f32 v0, vcc, s18, v0, s18
	s_mov_b32 s0, 0x3fb8aa3b
	v_fma_f32 v4, -v1, v3, 1.0
	v_fmac_f32_e32 v3, v4, v3
	v_mul_f32_e32 v4, v0, v3
	v_fma_f32 v5, -v1, v4, v0
	v_fmac_f32_e32 v4, v5, v3
	v_fma_f32 v0, -v1, v4, v0
	v_div_fmas_f32 v0, v0, v3, v4
	v_div_fixup_f32 v0, v0, |v2|, s18
	v_add_f32_e32 v0, -2.0, v0
	v_mov_b32_e32 v1, 0xa2b236d3
	v_fmac_f32_e32 v1, 0xa3056dbb, v0
	v_mov_b32_e32 v3, 0x23056dbb
	v_fmac_f32_e32 v3, v0, v1
	v_add_f32_e32 v3, 0x244df0c1, v3
	v_fma_f32 v1, v0, v3, -v1
	v_add_f32_e32 v1, 0x241f9ee8, v1
	v_fma_f32 v3, v0, v1, -v3
	;; [unrolled: 2-line block ×17, first 2 shown]
	v_add_f32_e32 v1, 0x32c2b494, v1
	v_mul_f32_e64 v4, |v2|, s0
	v_fma_f32 v3, v0, v1, -v3
	v_rndne_f32_e32 v5, v4
	v_add_f32_e32 v3, 0x345c003f, v3
	v_sub_f32_e32 v6, v4, v5
	v_fma_f32 v4, |v2|, s0, -v4
	s_mov_b32 s0, 0x32a5705f
	v_fma_f32 v1, v0, v3, -v1
	v_fma_f32 v4, |v2|, s0, v4
	v_add_f32_e32 v1, 0x3642095e, v1
	v_add_f32_e32 v4, v6, v4
	v_fma_f32 v3, v0, v1, -v3
	v_exp_f32_e32 v4, v4
	v_cvt_i32_f32_e32 v5, v5
	v_add_f32_e32 v3, 0x38907d1c, v3
	v_fma_f32 v1, v0, v3, -v1
	v_add_f32_e32 v1, 0x3b5ccc65, v1
	s_mov_b32 s0, 0xc2ce8ed0
	v_fma_f32 v0, v0, v1, -v3
	v_ldexp_f32 v1, v4, v5
	v_cmp_nlt_f32_e64 vcc, |v2|, s0
	s_mov_b32 s0, 0x42b17218
	v_cndmask_b32_e32 v1, 0, v1, vcc
	v_mov_b32_e32 v4, 0x7f800000
	v_cmp_ngt_f32_e64 vcc, |v2|, s0
	s_mov_b32 s0, 0xf800000
	s_mov_b32 s1, 0x4f800000
	v_cndmask_b32_e32 v1, v4, v1, vcc
	v_mul_f32_e64 v4, |v2|, s1
	v_cmp_lt_f32_e64 vcc, |v2|, s0
	v_cndmask_b32_e64 v2, |v2|, v4, vcc
	v_sqrt_f32_e32 v4, v2
	v_add_f32_e32 v0, 0x3f4df315, v0
	v_sub_f32_e32 v0, v0, v3
	v_mul_f32_e32 v0, 0.5, v0
	v_mul_f32_e32 v0, v1, v0
	v_add_u32_e32 v1, -1, v4
	v_fma_f32 v3, -v1, v4, v2
	v_cmp_ge_f32_e64 s[0:1], 0, v3
	v_add_u32_e32 v3, 1, v4
	v_cndmask_b32_e64 v1, v4, v1, s[0:1]
	v_fma_f32 v4, -v3, v4, v2
	v_cmp_lt_f32_e64 s[0:1], 0, v4
	v_cndmask_b32_e64 v1, v1, v3, s[0:1]
	v_mul_f32_e32 v3, 0x37800000, v1
	v_cndmask_b32_e32 v1, v1, v3, vcc
	v_mov_b32_e32 v3, 0x260
	v_cmp_class_f32_e32 vcc, v2, v3
	v_cndmask_b32_e32 v1, v1, v2, vcc
	v_div_scale_f32 v2, s[0:1], v1, v1, v0
	v_rcp_f32_e32 v3, v2
	v_fma_f32 v4, -v2, v3, 1.0
	v_fmac_f32_e32 v3, v4, v3
	v_div_scale_f32 v4, vcc, v0, v1, v0
	v_mul_f32_e32 v5, v4, v3
	v_fma_f32 v6, -v2, v5, v4
	v_fmac_f32_e32 v5, v6, v3
	v_fma_f32 v2, -v2, v5, v4
	v_div_fmas_f32 v2, v2, v3, v5
	v_div_fixup_f32 v0, v2, v1, v0
.LBB17_15:
	s_or_b64 exec, exec, s[6:7]
	v_mul_lo_u32 v1, v8, s12
	v_ashrrev_i32_e32 v3, 31, v1
	v_mov_b32_e32 v4, s9
	v_add_co_u32_e32 v2, vcc, s8, v1
	v_mov_b32_e32 v1, 11
	v_addc_co_u32_e32 v3, vcc, v4, v3, vcc
	v_cmp_lt_i16_sdwa s[0:1], v10, v1 src0_sel:BYTE_0 src1_sel:DWORD
	s_and_b64 vcc, exec, s[0:1]
	s_cbranch_vccnz .LBB17_23
; %bb.16:
	v_mov_b32_e32 v1, 25
	v_cmp_gt_i16_sdwa s[0:1], v10, v1 src0_sel:BYTE_0 src1_sel:DWORD
	s_and_b64 vcc, exec, s[0:1]
	s_cbranch_vccz .LBB17_27
; %bb.17:
	v_mov_b32_e32 v1, 28
	v_cmp_gt_i16_sdwa s[0:1], v10, v1 src0_sel:BYTE_0 src1_sel:DWORD
	s_and_b64 vcc, exec, s[0:1]
	s_cbranch_vccz .LBB17_29
	;; [unrolled: 5-line block ×4, first 2 shown]
; %bb.20:
	v_mov_b32_e32 v1, 46
	v_cmp_eq_u16_sdwa s[6:7], v10, v1 src0_sel:BYTE_0 src1_sel:DWORD
	s_mov_b64 s[18:19], 0
	s_mov_b64 s[0:1], -1
	s_and_b64 vcc, exec, s[6:7]
	s_mov_b64 s[6:7], 0
	s_cbranch_vccz .LBB17_38
; %bb.21:
	v_bfe_u32 v1, v0, 16, 1
	s_movk_i32 s0, 0x7fff
	v_add3_u32 v1, v0, v1, s0
	v_lshrrev_b32_e32 v1, 16, v1
	v_mov_b32_e32 v4, 0x7fc0
	v_cmp_o_f32_e32 vcc, v0, v0
	v_cndmask_b32_e32 v1, v4, v1, vcc
	global_store_dword v[2:3], v1, off
	s_mov_b64 s[6:7], -1
	s_mov_b64 s[0:1], 0
	s_branch .LBB17_38
.LBB17_22:
	s_mov_b64 s[0:1], 0
                                        ; implicit-def: $vgpr2
	s_cbranch_execnz .LBB17_172
	s_branch .LBB17_206
.LBB17_23:
	s_mov_b64 s[0:1], 0
	s_mov_b64 s[6:7], 0
	s_cbranch_execnz .LBB17_107
.LBB17_24:
	s_andn2_b64 vcc, exec, s[6:7]
	s_cbranch_vccnz .LBB17_145
.LBB17_25:
	v_add_u32_e32 v8, 0x80, v8
	s_mov_b64 s[18:19], -1
	s_branch .LBB17_255
.LBB17_26:
	s_mov_b64 s[6:7], -1
	s_mov_b64 s[0:1], 0
                                        ; implicit-def: $vgpr2
	s_branch .LBB17_153
.LBB17_27:
	s_mov_b64 s[18:19], -1
	s_mov_b64 s[0:1], 0
	s_mov_b64 s[6:7], 0
	s_branch .LBB17_65
.LBB17_28:
	s_mov_b64 s[6:7], -1
	s_mov_b64 s[0:1], 0
                                        ; implicit-def: $vgpr2
	s_branch .LBB17_148
.LBB17_29:
	s_mov_b64 s[18:19], -1
	s_mov_b64 s[0:1], 0
	s_mov_b64 s[6:7], 0
	s_branch .LBB17_48
.LBB17_30:
	s_mov_b64 s[6:7], -1
	s_branch .LBB17_33
.LBB17_31:
	s_mov_b64 s[18:19], -1
	s_mov_b64 s[0:1], 0
	s_mov_b64 s[6:7], 0
	s_branch .LBB17_44
.LBB17_32:
	s_mov_b64 s[14:15], -1
.LBB17_33:
	s_mov_b64 s[0:1], 0
                                        ; implicit-def: $vgpr2
.LBB17_34:
	s_and_b64 vcc, exec, s[6:7]
	s_cbranch_vccz .LBB17_147
; %bb.35:
	v_cmp_eq_u16_e32 vcc, 44, v9
	s_cbranch_vccz .LBB17_146
; %bb.36:
	global_load_ubyte v2, v[0:1], off
	s_movk_i32 s6, 0xff
	v_mov_b32_e32 v3, 0x7f800001
	v_mov_b32_e32 v4, 0x400000
	s_mov_b64 s[0:1], -1
	s_mov_b64 s[14:15], 0
	s_waitcnt vmcnt(0)
	v_lshlrev_b32_e32 v5, 23, v2
	v_cmp_ne_u32_e32 vcc, s6, v2
	v_cndmask_b32_e32 v3, v3, v5, vcc
	v_cmp_ne_u32_e32 vcc, 0, v2
	v_cndmask_b32_e32 v2, v4, v3, vcc
	s_branch .LBB17_147
.LBB17_37:
	s_mov_b64 s[18:19], -1
	s_mov_b64 s[0:1], 0
	s_mov_b64 s[6:7], 0
.LBB17_38:
	s_and_b64 vcc, exec, s[18:19]
	s_cbranch_vccz .LBB17_43
; %bb.39:
	v_mov_b32_e32 v1, 44
	v_cmp_eq_u16_sdwa s[18:19], v10, v1 src0_sel:BYTE_0 src1_sel:DWORD
	s_mov_b64 s[0:1], -1
	s_and_b64 vcc, exec, s[18:19]
	s_cbranch_vccz .LBB17_43
; %bb.40:
	v_bfe_u32 v1, v0, 23, 8
	s_movk_i32 s0, 0xff
	v_cmp_ne_u32_e32 vcc, s0, v1
	v_mov_b32_e32 v4, 0xff
	s_and_saveexec_b64 s[6:7], vcc
; %bb.41:
	s_mov_b32 s0, 0x3fffff
	v_and_b32_e32 v5, 0x400000, v0
	v_and_or_b32 v1, v0, s0, v1
	v_cmp_ne_u32_e32 vcc, 0, v5
	v_cmp_ne_u32_e64 s[0:1], 0, v1
	s_and_b64 s[0:1], vcc, s[0:1]
	v_lshrrev_b32_e32 v4, 23, v0
	v_cndmask_b32_e64 v1, 0, 1, s[0:1]
	v_add_u32_e32 v4, v4, v1
; %bb.42:
	s_or_b64 exec, exec, s[6:7]
	s_mov_b64 s[6:7], -1
	s_mov_b64 s[0:1], 0
	global_store_byte v[2:3], v4, off
.LBB17_43:
	s_mov_b64 s[18:19], 0
.LBB17_44:
	s_and_b64 vcc, exec, s[18:19]
	s_cbranch_vccz .LBB17_47
; %bb.45:
	v_mov_b32_e32 v1, 29
	v_cmp_eq_u16_sdwa s[18:19], v10, v1 src0_sel:BYTE_0 src1_sel:DWORD
	s_mov_b64 s[0:1], -1
	s_and_b64 vcc, exec, s[18:19]
	s_cbranch_vccz .LBB17_47
; %bb.46:
	v_trunc_f32_e32 v1, v0
	v_mul_f32_e32 v4, 0x2f800000, v1
	v_floor_f32_e32 v4, v4
	v_fmac_f32_e32 v1, 0xcf800000, v4
	v_cvt_u32_f32_e32 v5, v4
	v_cvt_u32_f32_e32 v4, v1
	s_mov_b64 s[6:7], -1
	s_mov_b64 s[0:1], 0
	s_mov_b64 s[18:19], 0
	global_store_dwordx2 v[2:3], v[4:5], off
	s_branch .LBB17_48
.LBB17_47:
	s_mov_b64 s[18:19], 0
.LBB17_48:
	s_and_b64 vcc, exec, s[18:19]
	s_cbranch_vccz .LBB17_64
; %bb.49:
	v_mov_b32_e32 v1, 27
	v_cmp_lt_i16_sdwa s[18:19], v10, v1 src0_sel:BYTE_0 src1_sel:DWORD
	s_mov_b64 s[6:7], -1
	s_and_b64 vcc, exec, s[18:19]
	s_cbranch_vccnz .LBB17_55
; %bb.50:
	v_cmp_gt_i16_sdwa s[18:19], v10, v1 src0_sel:BYTE_0 src1_sel:DWORD
	v_cvt_u32_f32_e32 v1, v0
	s_and_b64 vcc, exec, s[18:19]
	s_cbranch_vccz .LBB17_52
; %bb.51:
	s_mov_b64 s[6:7], 0
	global_store_dword v[2:3], v1, off
.LBB17_52:
	s_andn2_b64 vcc, exec, s[6:7]
	s_cbranch_vccnz .LBB17_54
; %bb.53:
	global_store_short v[2:3], v1, off
.LBB17_54:
	s_mov_b64 s[6:7], 0
.LBB17_55:
	s_andn2_b64 vcc, exec, s[6:7]
	s_cbranch_vccnz .LBB17_63
; %bb.56:
	v_and_b32_e32 v1, 0x7fffffff, v0
	s_mov_b32 s6, 0x43800000
	v_cmp_gt_u32_e32 vcc, s6, v1
	v_mov_b32_e32 v4, 0x80
	s_and_saveexec_b64 s[6:7], vcc
	s_cbranch_execz .LBB17_62
; %bb.57:
	s_mov_b32 s18, 0x3bffffff
	v_cmp_lt_u32_e32 vcc, s18, v1
	s_mov_b64 s[18:19], 0
                                        ; implicit-def: $vgpr1
	s_and_saveexec_b64 s[22:23], vcc
	s_xor_b64 s[22:23], exec, s[22:23]
	s_cbranch_execz .LBB17_287
; %bb.58:
	v_bfe_u32 v1, v0, 20, 1
	s_mov_b32 s24, 0x487ffff
	v_add3_u32 v1, v0, v1, s24
	s_mov_b64 s[18:19], exec
	v_lshrrev_b32_e32 v1, 20, v1
	s_or_saveexec_b64 s[22:23], s[22:23]
                                        ; implicit-def: $sgpr24
	s_xor_b64 exec, exec, s[22:23]
	s_cbranch_execnz .LBB17_288
.LBB17_59:
	s_or_b64 exec, exec, s[22:23]
	v_mov_b32_e32 v4, s24
	s_and_saveexec_b64 s[22:23], s[18:19]
.LBB17_60:
	v_lshrrev_b32_e32 v4, 24, v0
	s_movk_i32 s18, 0x80
	v_and_or_b32 v4, v4, s18, v1
.LBB17_61:
	s_or_b64 exec, exec, s[22:23]
.LBB17_62:
	s_or_b64 exec, exec, s[6:7]
	global_store_byte v[2:3], v4, off
.LBB17_63:
	s_mov_b64 s[6:7], -1
.LBB17_64:
	s_mov_b64 s[18:19], 0
.LBB17_65:
	s_and_b64 vcc, exec, s[18:19]
	s_cbranch_vccz .LBB17_106
; %bb.66:
	v_mov_b32_e32 v1, 22
	v_cmp_gt_i16_sdwa s[22:23], v10, v1 src0_sel:BYTE_0 src1_sel:DWORD
	s_mov_b64 s[18:19], -1
	s_and_b64 vcc, exec, s[22:23]
	s_cbranch_vccz .LBB17_98
; %bb.67:
	v_mov_b32_e32 v1, 24
	v_cmp_lt_i16_sdwa s[18:19], v10, v1 src0_sel:BYTE_0 src1_sel:DWORD
	s_mov_b64 s[6:7], -1
	s_and_b64 vcc, exec, s[18:19]
	s_cbranch_vccnz .LBB17_87
; %bb.68:
	v_cmp_gt_i16_sdwa s[18:19], v10, v1 src0_sel:BYTE_0 src1_sel:DWORD
	s_and_b64 vcc, exec, s[18:19]
	s_cbranch_vccz .LBB17_76
; %bb.69:
	v_and_b32_e32 v1, 0x7fffffff, v0
	s_mov_b32 s6, 0x47800000
	v_cmp_gt_u32_e32 vcc, s6, v1
	v_mov_b32_e32 v4, 0x80
	s_and_saveexec_b64 s[6:7], vcc
	s_cbranch_execz .LBB17_75
; %bb.70:
	s_mov_b32 s18, 0x37ffffff
	v_cmp_lt_u32_e32 vcc, s18, v1
	s_mov_b64 s[18:19], 0
                                        ; implicit-def: $vgpr1
	s_and_saveexec_b64 s[22:23], vcc
	s_xor_b64 s[22:23], exec, s[22:23]
	s_cbranch_execz .LBB17_291
; %bb.71:
	v_bfe_u32 v1, v0, 21, 1
	s_mov_b32 s24, 0x88fffff
	v_add3_u32 v1, v0, v1, s24
	s_mov_b64 s[18:19], exec
	v_lshrrev_b32_e32 v1, 21, v1
	s_or_saveexec_b64 s[22:23], s[22:23]
                                        ; implicit-def: $sgpr24
	s_xor_b64 exec, exec, s[22:23]
	s_cbranch_execnz .LBB17_292
.LBB17_72:
	s_or_b64 exec, exec, s[22:23]
	v_mov_b32_e32 v4, s24
	s_and_saveexec_b64 s[22:23], s[18:19]
.LBB17_73:
	v_lshrrev_b32_e32 v4, 24, v0
	s_movk_i32 s18, 0x80
	v_and_or_b32 v4, v4, s18, v1
.LBB17_74:
	s_or_b64 exec, exec, s[22:23]
.LBB17_75:
	s_or_b64 exec, exec, s[6:7]
	s_mov_b64 s[6:7], 0
	global_store_byte v[2:3], v4, off
.LBB17_76:
	s_and_b64 vcc, exec, s[6:7]
	s_cbranch_vccz .LBB17_86
; %bb.77:
	v_and_b32_e32 v4, 0x7fffffff, v0
	s_mov_b32 s6, 0x43f00000
	v_cmp_gt_u32_e32 vcc, s6, v4
                                        ; implicit-def: $vgpr1
	s_and_saveexec_b64 s[6:7], vcc
	s_xor_b64 s[6:7], exec, s[6:7]
	s_cbranch_execz .LBB17_83
; %bb.78:
	s_mov_b32 s18, 0x3c7fffff
	v_cmp_lt_u32_e32 vcc, s18, v4
                                        ; implicit-def: $vgpr1
	s_and_saveexec_b64 s[18:19], vcc
	s_xor_b64 s[18:19], exec, s[18:19]
; %bb.79:
	v_bfe_u32 v1, v0, 20, 1
	s_mov_b32 s22, 0x407ffff
	v_add3_u32 v1, v0, v1, s22
	v_lshrrev_b32_e32 v4, 20, v1
	v_and_b32_e32 v1, 0xff00000, v1
	s_mov_b32 s22, 0x7f00000
	v_mov_b32_e32 v5, 0x7e
	v_cmp_ne_u32_e32 vcc, s22, v1
	v_cndmask_b32_e32 v1, v5, v4, vcc
; %bb.80:
	s_andn2_saveexec_b64 s[18:19], s[18:19]
; %bb.81:
	s_mov_b32 s22, 0x46800000
	v_add_f32_e64 v1, |v0|, s22
; %bb.82:
	s_or_b64 exec, exec, s[18:19]
                                        ; implicit-def: $vgpr4
.LBB17_83:
	s_andn2_saveexec_b64 s[6:7], s[6:7]
; %bb.84:
	s_mov_b32 s18, 0x7f800000
	v_mov_b32_e32 v1, 0x7e
	v_mov_b32_e32 v5, 0x7f
	v_cmp_lt_u32_e32 vcc, s18, v4
	v_cndmask_b32_e32 v1, v1, v5, vcc
; %bb.85:
	s_or_b64 exec, exec, s[6:7]
	v_lshrrev_b32_e32 v4, 24, v0
	s_movk_i32 s6, 0x80
	v_and_or_b32 v1, v4, s6, v1
	global_store_byte v[2:3], v1, off
.LBB17_86:
	s_mov_b64 s[6:7], 0
.LBB17_87:
	s_andn2_b64 vcc, exec, s[6:7]
	s_cbranch_vccnz .LBB17_97
; %bb.88:
	v_and_b32_e32 v4, 0x7fffffff, v0
	s_mov_b32 s6, 0x47800000
	v_cmp_gt_u32_e32 vcc, s6, v4
                                        ; implicit-def: $vgpr1
	s_and_saveexec_b64 s[6:7], vcc
	s_xor_b64 s[6:7], exec, s[6:7]
	s_cbranch_execz .LBB17_94
; %bb.89:
	s_mov_b32 s18, 0x387fffff
	v_cmp_lt_u32_e32 vcc, s18, v4
                                        ; implicit-def: $vgpr1
	s_and_saveexec_b64 s[18:19], vcc
	s_xor_b64 s[18:19], exec, s[18:19]
; %bb.90:
	v_bfe_u32 v1, v0, 21, 1
	s_mov_b32 s22, 0x80fffff
	v_add3_u32 v1, v0, v1, s22
	v_lshrrev_b32_e32 v1, 21, v1
; %bb.91:
	s_andn2_saveexec_b64 s[18:19], s[18:19]
; %bb.92:
	s_mov_b32 s22, 0x43000000
	v_add_f32_e64 v1, |v0|, s22
; %bb.93:
	s_or_b64 exec, exec, s[18:19]
                                        ; implicit-def: $vgpr4
.LBB17_94:
	s_andn2_saveexec_b64 s[6:7], s[6:7]
; %bb.95:
	s_mov_b32 s18, 0x7f800000
	v_mov_b32_e32 v1, 0x7c
	v_mov_b32_e32 v5, 0x7f
	v_cmp_lt_u32_e32 vcc, s18, v4
	v_cndmask_b32_e32 v1, v1, v5, vcc
; %bb.96:
	s_or_b64 exec, exec, s[6:7]
	v_lshrrev_b32_e32 v4, 24, v0
	s_movk_i32 s6, 0x80
	v_and_or_b32 v1, v4, s6, v1
	global_store_byte v[2:3], v1, off
.LBB17_97:
	s_mov_b64 s[18:19], 0
	s_mov_b64 s[6:7], -1
.LBB17_98:
	s_andn2_b64 vcc, exec, s[18:19]
	s_cbranch_vccnz .LBB17_106
; %bb.99:
	v_mov_b32_e32 v1, 14
	v_cmp_gt_i16_sdwa s[22:23], v10, v1 src0_sel:BYTE_0 src1_sel:DWORD
	s_mov_b64 s[18:19], -1
	s_and_b64 vcc, exec, s[22:23]
	s_cbranch_vccz .LBB17_103
; %bb.100:
	v_mov_b32_e32 v1, 15
	v_cmp_eq_u16_sdwa s[18:19], v10, v1 src0_sel:BYTE_0 src1_sel:DWORD
	s_mov_b64 s[0:1], -1
	s_and_b64 vcc, exec, s[18:19]
	s_cbranch_vccz .LBB17_102
; %bb.101:
	v_bfe_u32 v1, v0, 16, 1
	s_movk_i32 s0, 0x7fff
	v_add3_u32 v1, v0, v1, s0
	v_lshrrev_b32_e32 v1, 16, v1
	v_mov_b32_e32 v4, 0x7fc0
	v_cmp_o_f32_e32 vcc, v0, v0
	v_cndmask_b32_e32 v1, v4, v1, vcc
	global_store_short v[2:3], v1, off
	s_mov_b64 s[6:7], -1
	s_mov_b64 s[0:1], 0
.LBB17_102:
	s_mov_b64 s[18:19], 0
.LBB17_103:
	s_and_b64 vcc, exec, s[18:19]
	s_cbranch_vccz .LBB17_106
; %bb.104:
	v_mov_b32_e32 v1, 11
	v_cmp_eq_u16_sdwa s[18:19], v10, v1 src0_sel:BYTE_0 src1_sel:DWORD
	s_mov_b64 s[0:1], -1
	s_and_b64 vcc, exec, s[18:19]
	s_cbranch_vccz .LBB17_106
; %bb.105:
	v_cmp_neq_f32_e32 vcc, 0, v0
	v_cndmask_b32_e64 v1, 0, 1, vcc
	s_mov_b64 s[6:7], -1
	s_mov_b64 s[0:1], 0
	global_store_byte v[2:3], v1, off
.LBB17_106:
	s_branch .LBB17_24
.LBB17_107:
	v_mov_b32_e32 v1, 5
	v_cmp_lt_i16_sdwa s[18:19], v10, v1 src0_sel:BYTE_0 src1_sel:DWORD
	s_mov_b64 s[6:7], -1
	s_and_b64 vcc, exec, s[18:19]
	s_cbranch_vccnz .LBB17_128
; %bb.108:
	v_mov_b32_e32 v1, 8
	v_cmp_lt_i16_sdwa s[18:19], v10, v1 src0_sel:BYTE_0 src1_sel:DWORD
	s_and_b64 vcc, exec, s[18:19]
	s_cbranch_vccnz .LBB17_118
; %bb.109:
	v_mov_b32_e32 v1, 9
	v_cmp_lt_i16_sdwa s[18:19], v10, v1 src0_sel:BYTE_0 src1_sel:DWORD
	s_and_b64 vcc, exec, s[18:19]
	s_cbranch_vccnz .LBB17_115
; %bb.110:
	v_cmp_gt_i16_sdwa s[18:19], v10, v1 src0_sel:BYTE_0 src1_sel:DWORD
	s_and_b64 vcc, exec, s[18:19]
	s_cbranch_vccz .LBB17_112
; %bb.111:
	v_mov_b32_e32 v6, 0
	v_cvt_f64_f32_e32 v[4:5], v0
	v_mov_b32_e32 v7, v6
	global_store_dwordx4 v[2:3], v[4:7], off
	s_mov_b64 s[6:7], 0
.LBB17_112:
	s_andn2_b64 vcc, exec, s[6:7]
	s_cbranch_vccnz .LBB17_114
; %bb.113:
	v_mov_b32_e32 v1, 0
	global_store_dwordx2 v[2:3], v[0:1], off
.LBB17_114:
	s_mov_b64 s[6:7], 0
.LBB17_115:
	s_andn2_b64 vcc, exec, s[6:7]
	s_cbranch_vccnz .LBB17_117
; %bb.116:
	v_cvt_f16_f32_e32 v1, v0
	global_store_dword v[2:3], v1, off
.LBB17_117:
	s_mov_b64 s[6:7], 0
.LBB17_118:
	s_andn2_b64 vcc, exec, s[6:7]
	s_cbranch_vccnz .LBB17_127
; %bb.119:
	v_mov_b32_e32 v1, 6
	v_cmp_lt_i16_sdwa s[18:19], v10, v1 src0_sel:BYTE_0 src1_sel:DWORD
	s_mov_b64 s[6:7], -1
	s_and_b64 vcc, exec, s[18:19]
	s_cbranch_vccnz .LBB17_125
; %bb.120:
	v_cmp_gt_i16_sdwa s[18:19], v10, v1 src0_sel:BYTE_0 src1_sel:DWORD
	s_and_b64 vcc, exec, s[18:19]
	s_cbranch_vccz .LBB17_122
; %bb.121:
	v_cvt_f64_f32_e32 v[4:5], v0
	global_store_dwordx2 v[2:3], v[4:5], off
	s_mov_b64 s[6:7], 0
.LBB17_122:
	s_andn2_b64 vcc, exec, s[6:7]
	s_cbranch_vccnz .LBB17_124
; %bb.123:
	global_store_dword v[2:3], v0, off
.LBB17_124:
	s_mov_b64 s[6:7], 0
.LBB17_125:
	s_andn2_b64 vcc, exec, s[6:7]
	s_cbranch_vccnz .LBB17_127
; %bb.126:
	v_cvt_f16_f32_e32 v1, v0
	global_store_short v[2:3], v1, off
.LBB17_127:
	s_mov_b64 s[6:7], 0
.LBB17_128:
	s_andn2_b64 vcc, exec, s[6:7]
	s_cbranch_vccnz .LBB17_144
; %bb.129:
	v_mov_b32_e32 v1, 2
	v_cmp_lt_i16_sdwa s[18:19], v10, v1 src0_sel:BYTE_0 src1_sel:DWORD
	s_mov_b64 s[6:7], -1
	s_and_b64 vcc, exec, s[18:19]
	s_cbranch_vccnz .LBB17_139
; %bb.130:
	v_mov_b32_e32 v1, 3
	v_cmp_lt_i16_sdwa s[18:19], v10, v1 src0_sel:BYTE_0 src1_sel:DWORD
	s_and_b64 vcc, exec, s[18:19]
	s_cbranch_vccnz .LBB17_136
; %bb.131:
	v_cmp_gt_i16_sdwa s[18:19], v10, v1 src0_sel:BYTE_0 src1_sel:DWORD
	s_and_b64 vcc, exec, s[18:19]
	s_cbranch_vccz .LBB17_133
; %bb.132:
	v_trunc_f32_e32 v1, v0
	s_mov_b32 s6, 0x2f800000
	v_mul_f32_e64 v4, |v1|, s6
	v_floor_f32_e32 v4, v4
	s_mov_b32 s6, 0xcf800000
	v_cvt_u32_f32_e32 v5, v4
	v_fma_f32 v4, v4, s6, |v1|
	v_cvt_u32_f32_e32 v4, v4
	v_ashrrev_i32_e32 v1, 31, v1
	v_xor_b32_e32 v5, v5, v1
	s_mov_b64 s[6:7], 0
	v_xor_b32_e32 v4, v4, v1
	v_sub_co_u32_e32 v4, vcc, v4, v1
	v_subb_co_u32_e32 v5, vcc, v5, v1, vcc
	global_store_dwordx2 v[2:3], v[4:5], off
.LBB17_133:
	s_andn2_b64 vcc, exec, s[6:7]
	s_cbranch_vccnz .LBB17_135
; %bb.134:
	v_cvt_i32_f32_e32 v1, v0
	global_store_dword v[2:3], v1, off
.LBB17_135:
	s_mov_b64 s[6:7], 0
.LBB17_136:
	s_andn2_b64 vcc, exec, s[6:7]
	s_cbranch_vccnz .LBB17_138
; %bb.137:
	v_cvt_i32_f32_e32 v1, v0
	global_store_short v[2:3], v1, off
.LBB17_138:
	s_mov_b64 s[6:7], 0
.LBB17_139:
	s_andn2_b64 vcc, exec, s[6:7]
	s_cbranch_vccnz .LBB17_144
; %bb.140:
	v_mov_b32_e32 v1, 0
	v_cmp_gt_i16_sdwa s[18:19], v10, v1 src0_sel:BYTE_0 src1_sel:DWORD
	s_mov_b64 s[6:7], -1
	s_and_b64 vcc, exec, s[18:19]
	s_cbranch_vccz .LBB17_142
; %bb.141:
	v_cvt_i32_f32_e32 v1, v0
	s_mov_b64 s[6:7], 0
	global_store_byte v[2:3], v1, off
.LBB17_142:
	s_andn2_b64 vcc, exec, s[6:7]
	s_cbranch_vccnz .LBB17_144
; %bb.143:
	v_trunc_f32_e32 v0, v0
	s_mov_b32 s6, 0x2f800000
	v_mul_f32_e64 v1, |v0|, s6
	v_floor_f32_e32 v1, v1
	s_mov_b32 s6, 0xcf800000
	v_fma_f32 v1, v1, s6, |v0|
	v_cvt_u32_f32_e32 v1, v1
	v_ashrrev_i32_e32 v0, 31, v0
	v_xor_b32_e32 v1, v1, v0
	v_sub_u32_e32 v0, v1, v0
	global_store_byte v[2:3], v0, off
.LBB17_144:
	s_branch .LBB17_25
.LBB17_145:
	s_mov_b64 s[18:19], 0
                                        ; implicit-def: $vgpr8
	s_branch .LBB17_255
.LBB17_146:
	s_mov_b64 s[14:15], -1
                                        ; implicit-def: $vgpr2
.LBB17_147:
	s_mov_b64 s[6:7], 0
.LBB17_148:
	s_and_b64 vcc, exec, s[6:7]
	s_cbranch_vccz .LBB17_152
; %bb.149:
	v_cmp_eq_u16_e32 vcc, 29, v9
	s_cbranch_vccz .LBB17_151
; %bb.150:
	global_load_dwordx2 v[2:3], v[0:1], off
	s_mov_b64 s[0:1], -1
	s_mov_b64 s[14:15], 0
	s_mov_b64 s[6:7], 0
	s_waitcnt vmcnt(0)
	v_ffbh_u32_e32 v4, v3
	v_min_u32_e32 v4, 32, v4
	v_lshlrev_b64 v[2:3], v4, v[2:3]
	v_min_u32_e32 v2, 1, v2
	v_or_b32_e32 v2, v3, v2
	v_cvt_f32_u32_e32 v2, v2
	v_sub_u32_e32 v3, 32, v4
	v_ldexp_f32 v2, v2, v3
	s_branch .LBB17_153
.LBB17_151:
	s_mov_b64 s[14:15], -1
                                        ; implicit-def: $vgpr2
.LBB17_152:
	s_mov_b64 s[6:7], 0
.LBB17_153:
	s_and_b64 vcc, exec, s[6:7]
	s_cbranch_vccz .LBB17_171
; %bb.154:
	v_cmp_gt_i16_e32 vcc, 27, v9
	s_cbranch_vccnz .LBB17_157
; %bb.155:
	v_cmp_lt_i16_e32 vcc, 27, v9
	s_cbranch_vccz .LBB17_158
; %bb.156:
	global_load_dword v2, v[0:1], off
	s_mov_b64 s[0:1], 0
	s_waitcnt vmcnt(0)
	v_cvt_f32_u32_e32 v2, v2
	s_branch .LBB17_159
.LBB17_157:
	s_mov_b64 s[0:1], -1
                                        ; implicit-def: $vgpr2
	s_branch .LBB17_162
.LBB17_158:
	s_mov_b64 s[0:1], -1
                                        ; implicit-def: $vgpr2
.LBB17_159:
	s_andn2_b64 vcc, exec, s[0:1]
	s_cbranch_vccnz .LBB17_161
; %bb.160:
	global_load_ushort v2, v[0:1], off
	s_waitcnt vmcnt(0)
	v_cvt_f32_u32_e32 v2, v2
.LBB17_161:
	s_mov_b64 s[0:1], 0
.LBB17_162:
	s_andn2_b64 vcc, exec, s[0:1]
	s_cbranch_vccnz .LBB17_170
; %bb.163:
	global_load_ubyte v3, v[0:1], off
	s_movk_i32 s0, 0x7f
                                        ; implicit-def: $sgpr22
	s_waitcnt vmcnt(0)
	v_cmp_lt_i16_e32 vcc, s0, v3
	s_mov_b64 s[0:1], 0
	s_and_saveexec_b64 s[6:7], vcc
	s_xor_b64 s[6:7], exec, s[6:7]
	s_cbranch_execz .LBB17_183
; %bb.164:
	s_movk_i32 s0, 0x80
	v_cmp_eq_u16_e32 vcc, s0, v3
	s_mov_b64 s[0:1], -1
                                        ; implicit-def: $sgpr22
	s_and_saveexec_b64 s[18:19], vcc
; %bb.165:
	s_mov_b32 s22, 0x7f800001
	s_xor_b64 s[0:1], exec, -1
; %bb.166:
	s_or_b64 exec, exec, s[18:19]
	s_and_b64 s[0:1], s[0:1], exec
	s_or_saveexec_b64 s[6:7], s[6:7]
	v_mov_b32_e32 v2, s22
	s_xor_b64 exec, exec, s[6:7]
	s_cbranch_execnz .LBB17_184
.LBB17_167:
	s_or_b64 exec, exec, s[6:7]
	s_and_saveexec_b64 s[6:7], s[0:1]
	s_cbranch_execz .LBB17_169
.LBB17_168:
	v_lshlrev_b32_e32 v2, 24, v3
	v_and_b32_e32 v3, 0xffff, v3
	v_and_b32_e32 v4, 7, v3
	v_ffbh_u32_e32 v6, v4
	v_min_u32_e32 v6, 32, v6
	v_subrev_u32_e32 v7, 28, v6
	v_bfe_u32 v5, v3, 3, 4
	v_lshlrev_b32_e32 v3, v7, v3
	v_sub_u32_e32 v6, 29, v6
	v_and_b32_e32 v3, 7, v3
	v_cmp_eq_u32_e32 vcc, 0, v5
	v_cndmask_b32_e32 v5, v5, v6, vcc
	v_cndmask_b32_e32 v3, v4, v3, vcc
	v_mov_b32_e32 v4, 0x3b800000
	v_lshlrev_b32_e32 v3, 20, v3
	v_and_b32_e32 v2, 0x80000000, v2
	v_lshl_add_u32 v4, v5, 23, v4
	v_or3_b32 v2, v2, v4, v3
.LBB17_169:
	s_or_b64 exec, exec, s[6:7]
.LBB17_170:
	s_mov_b64 s[0:1], -1
.LBB17_171:
	s_branch .LBB17_206
.LBB17_172:
	v_cmp_lt_i16_e32 vcc, 22, v9
	s_cbranch_vccz .LBB17_182
; %bb.173:
	v_cmp_gt_i16_e32 vcc, 24, v9
	s_cbranch_vccnz .LBB17_185
; %bb.174:
	v_cmp_lt_i16_e32 vcc, 24, v9
	s_cbranch_vccz .LBB17_186
; %bb.175:
	global_load_ubyte v3, v[0:1], off
	s_movk_i32 s0, 0x7f
                                        ; implicit-def: $sgpr22
	s_waitcnt vmcnt(0)
	v_cmp_lt_i16_e32 vcc, s0, v3
	s_mov_b64 s[0:1], 0
	s_and_saveexec_b64 s[6:7], vcc
	s_xor_b64 s[6:7], exec, s[6:7]
	s_cbranch_execz .LBB17_198
; %bb.176:
	s_movk_i32 s0, 0x80
	v_cmp_eq_u16_e32 vcc, s0, v3
	s_mov_b64 s[0:1], -1
                                        ; implicit-def: $sgpr22
	s_and_saveexec_b64 s[18:19], vcc
; %bb.177:
	s_mov_b32 s22, 0x7f800001
	s_xor_b64 s[0:1], exec, -1
; %bb.178:
	s_or_b64 exec, exec, s[18:19]
	s_and_b64 s[0:1], s[0:1], exec
	s_or_saveexec_b64 s[6:7], s[6:7]
	v_mov_b32_e32 v2, s22
	s_xor_b64 exec, exec, s[6:7]
	s_cbranch_execnz .LBB17_199
.LBB17_179:
	s_or_b64 exec, exec, s[6:7]
	s_and_saveexec_b64 s[6:7], s[0:1]
	s_cbranch_execz .LBB17_181
.LBB17_180:
	v_lshlrev_b32_e32 v2, 24, v3
	v_and_b32_e32 v3, 0xffff, v3
	v_and_b32_e32 v4, 3, v3
	v_ffbh_u32_e32 v6, v4
	v_min_u32_e32 v6, 32, v6
	v_subrev_u32_e32 v7, 29, v6
	v_bfe_u32 v5, v3, 2, 5
	v_lshlrev_b32_e32 v3, v7, v3
	v_sub_u32_e32 v6, 30, v6
	v_and_b32_e32 v3, 3, v3
	v_cmp_eq_u32_e32 vcc, 0, v5
	v_cndmask_b32_e32 v5, v5, v6, vcc
	v_cndmask_b32_e32 v3, v4, v3, vcc
	v_mov_b32_e32 v4, 0x37800000
	v_lshlrev_b32_e32 v3, 21, v3
	v_and_b32_e32 v2, 0x80000000, v2
	v_lshl_add_u32 v4, v5, 23, v4
	v_or3_b32 v2, v2, v4, v3
.LBB17_181:
	s_or_b64 exec, exec, s[6:7]
	s_mov_b64 s[0:1], 0
	s_branch .LBB17_187
.LBB17_182:
	s_mov_b64 s[6:7], -1
                                        ; implicit-def: $vgpr2
	s_branch .LBB17_193
.LBB17_183:
	s_or_saveexec_b64 s[6:7], s[6:7]
	v_mov_b32_e32 v2, s22
	s_xor_b64 exec, exec, s[6:7]
	s_cbranch_execz .LBB17_167
.LBB17_184:
	v_cmp_ne_u16_e32 vcc, 0, v3
	s_andn2_b64 s[0:1], s[0:1], exec
	s_and_b64 s[18:19], vcc, exec
	v_mov_b32_e32 v2, 0
	s_or_b64 s[0:1], s[0:1], s[18:19]
	s_or_b64 exec, exec, s[6:7]
	s_and_saveexec_b64 s[6:7], s[0:1]
	s_cbranch_execnz .LBB17_168
	s_branch .LBB17_169
.LBB17_185:
	s_mov_b64 s[0:1], -1
                                        ; implicit-def: $vgpr2
	s_branch .LBB17_190
.LBB17_186:
	s_mov_b64 s[0:1], -1
                                        ; implicit-def: $vgpr2
.LBB17_187:
	s_and_b64 vcc, exec, s[0:1]
	s_cbranch_vccz .LBB17_189
; %bb.188:
	global_load_ubyte v2, v[0:1], off
	s_mov_b32 s0, 0x7f800000
	s_waitcnt vmcnt(0)
	v_lshlrev_b32_e32 v2, 24, v2
	v_and_b32_e32 v3, 0x7f000000, v2
	v_ffbh_u32_e32 v4, v3
	v_min_u32_e32 v4, 32, v4
	v_sub_u32_e64 v4, v4, 4 clamp
	v_lshlrev_b32_e32 v6, v4, v3
	v_lshlrev_b32_e32 v4, 23, v4
	v_lshrrev_b32_e32 v6, 4, v6
	v_add_u32_e32 v5, 0x1000000, v3
	v_sub_u32_e32 v4, v6, v4
	v_ashrrev_i32_e32 v5, 8, v5
	v_add_u32_e32 v4, 0x3c000000, v4
	v_and_or_b32 v4, v5, s0, v4
	v_cmp_ne_u32_e32 vcc, 0, v3
	v_cndmask_b32_e32 v3, 0, v4, vcc
	s_brev_b32 s0, 1
	v_and_or_b32 v2, v2, s0, v3
.LBB17_189:
	s_mov_b64 s[0:1], 0
.LBB17_190:
	s_andn2_b64 vcc, exec, s[0:1]
	s_cbranch_vccnz .LBB17_192
; %bb.191:
	global_load_ubyte v2, v[0:1], off
	s_movk_i32 s0, 0x7f00
	s_brev_b32 s1, 16
	s_waitcnt vmcnt(0)
	v_lshlrev_b16_e32 v3, 8, v2
	v_lshlrev_b32_e32 v2, 25, v2
	v_lshrrev_b32_e32 v4, 4, v2
	v_and_or_b32 v5, v3, s0, 0.5
	v_or_b32_e32 v4, 0x70000000, v4
	v_add_f32_e32 v5, -0.5, v5
	v_mul_f32_e32 v4, 0x7800000, v4
	v_cmp_gt_u32_e32 vcc, s1, v2
	v_bfe_i32 v3, v3, 0, 16
	v_cndmask_b32_e32 v2, v4, v5, vcc
	s_brev_b32 s0, 1
	v_and_or_b32 v2, v3, s0, v2
.LBB17_192:
	s_mov_b64 s[6:7], 0
	s_mov_b64 s[0:1], -1
.LBB17_193:
	s_andn2_b64 vcc, exec, s[6:7]
	s_cbranch_vccnz .LBB17_206
; %bb.194:
	v_cmp_lt_i16_e32 vcc, 14, v9
	s_cbranch_vccz .LBB17_197
; %bb.195:
	v_cmp_eq_u16_e32 vcc, 15, v9
	s_cbranch_vccz .LBB17_200
; %bb.196:
	global_load_ushort v2, v[0:1], off
	s_mov_b64 s[0:1], -1
	s_mov_b64 s[14:15], 0
	s_waitcnt vmcnt(0)
	v_lshlrev_b32_e32 v2, 16, v2
	s_branch .LBB17_201
.LBB17_197:
	s_mov_b64 s[6:7], -1
                                        ; implicit-def: $vgpr2
	s_branch .LBB17_202
.LBB17_198:
	s_or_saveexec_b64 s[6:7], s[6:7]
	v_mov_b32_e32 v2, s22
	s_xor_b64 exec, exec, s[6:7]
	s_cbranch_execz .LBB17_179
.LBB17_199:
	v_cmp_ne_u16_e32 vcc, 0, v3
	s_andn2_b64 s[0:1], s[0:1], exec
	s_and_b64 s[18:19], vcc, exec
	v_mov_b32_e32 v2, 0
	s_or_b64 s[0:1], s[0:1], s[18:19]
	s_or_b64 exec, exec, s[6:7]
	s_and_saveexec_b64 s[6:7], s[0:1]
	s_cbranch_execnz .LBB17_180
	s_branch .LBB17_181
.LBB17_200:
	s_mov_b64 s[14:15], -1
                                        ; implicit-def: $vgpr2
.LBB17_201:
	s_mov_b64 s[6:7], 0
.LBB17_202:
	s_and_b64 vcc, exec, s[6:7]
	s_cbranch_vccz .LBB17_206
; %bb.203:
	v_cmp_eq_u16_e32 vcc, 11, v9
	s_cbranch_vccz .LBB17_205
; %bb.204:
	global_load_ubyte v2, v[0:1], off
	s_mov_b64 s[0:1], -1
	s_mov_b64 s[14:15], 0
	s_waitcnt vmcnt(0)
	v_cmp_ne_u16_e32 vcc, 0, v2
	v_cndmask_b32_e64 v2, 0, 1.0, vcc
	s_branch .LBB17_206
.LBB17_205:
	s_mov_b64 s[14:15], -1
                                        ; implicit-def: $vgpr2
.LBB17_206:
	s_branch .LBB17_10
.LBB17_207:
	v_cmp_gt_i16_e32 vcc, 5, v9
	s_cbranch_vccnz .LBB17_212
; %bb.208:
	v_cmp_gt_i16_e32 vcc, 8, v9
	s_cbranch_vccnz .LBB17_213
; %bb.209:
	;; [unrolled: 3-line block ×3, first 2 shown]
	v_cmp_lt_i16_e32 vcc, 9, v9
	s_cbranch_vccz .LBB17_215
; %bb.211:
	global_load_dwordx2 v[2:3], v[0:1], off
	s_mov_b64 s[0:1], 0
	s_waitcnt vmcnt(0)
	v_cvt_f32_f64_e32 v2, v[2:3]
	s_branch .LBB17_216
.LBB17_212:
                                        ; implicit-def: $vgpr2
	s_branch .LBB17_234
.LBB17_213:
	s_mov_b64 s[0:1], -1
                                        ; implicit-def: $vgpr2
	s_branch .LBB17_222
.LBB17_214:
	s_mov_b64 s[0:1], -1
                                        ; implicit-def: $vgpr2
	s_branch .LBB17_219
.LBB17_215:
	s_mov_b64 s[0:1], -1
                                        ; implicit-def: $vgpr2
.LBB17_216:
	s_andn2_b64 vcc, exec, s[0:1]
	s_cbranch_vccnz .LBB17_218
; %bb.217:
	global_load_dword v2, v[0:1], off
.LBB17_218:
	s_mov_b64 s[0:1], 0
.LBB17_219:
	s_andn2_b64 vcc, exec, s[0:1]
	s_cbranch_vccnz .LBB17_221
; %bb.220:
	global_load_dword v2, v[0:1], off
	s_waitcnt vmcnt(0)
	v_cvt_f32_f16_e32 v2, v2
.LBB17_221:
	s_mov_b64 s[0:1], 0
.LBB17_222:
	s_andn2_b64 vcc, exec, s[0:1]
	s_cbranch_vccnz .LBB17_233
; %bb.223:
	v_cmp_gt_i16_e32 vcc, 6, v9
	s_cbranch_vccnz .LBB17_226
; %bb.224:
	v_cmp_lt_i16_e32 vcc, 6, v9
	s_cbranch_vccz .LBB17_227
; %bb.225:
	global_load_dwordx2 v[2:3], v[0:1], off
	s_mov_b64 s[0:1], 0
	s_waitcnt vmcnt(0)
	v_cvt_f32_f64_e32 v2, v[2:3]
	s_branch .LBB17_228
.LBB17_226:
	s_mov_b64 s[0:1], -1
                                        ; implicit-def: $vgpr2
	s_branch .LBB17_231
.LBB17_227:
	s_mov_b64 s[0:1], -1
                                        ; implicit-def: $vgpr2
.LBB17_228:
	s_andn2_b64 vcc, exec, s[0:1]
	s_cbranch_vccnz .LBB17_230
; %bb.229:
	global_load_dword v2, v[0:1], off
.LBB17_230:
	s_mov_b64 s[0:1], 0
.LBB17_231:
	s_andn2_b64 vcc, exec, s[0:1]
	s_cbranch_vccnz .LBB17_233
; %bb.232:
	global_load_ushort v2, v[0:1], off
	s_waitcnt vmcnt(0)
	v_cvt_f32_f16_e32 v2, v2
.LBB17_233:
	s_cbranch_execnz .LBB17_253
.LBB17_234:
	v_cmp_gt_i16_e32 vcc, 2, v9
	s_cbranch_vccnz .LBB17_238
; %bb.235:
	v_cmp_gt_i16_e32 vcc, 3, v9
	s_cbranch_vccnz .LBB17_239
; %bb.236:
	v_cmp_lt_i16_e32 vcc, 3, v9
	s_cbranch_vccz .LBB17_240
; %bb.237:
	global_load_dwordx2 v[2:3], v[0:1], off
	s_mov_b64 s[0:1], 0
	s_waitcnt vmcnt(0)
	v_xor_b32_e32 v5, v2, v3
	v_ffbh_i32_e32 v4, v3
	v_ashrrev_i32_e32 v5, 31, v5
	v_add_u32_e32 v4, -1, v4
	v_add_u32_e32 v5, 32, v5
	v_min_u32_e32 v4, v4, v5
	v_lshlrev_b64 v[2:3], v4, v[2:3]
	v_min_u32_e32 v2, 1, v2
	v_or_b32_e32 v2, v3, v2
	v_cvt_f32_i32_e32 v2, v2
	v_sub_u32_e32 v3, 32, v4
	v_ldexp_f32 v2, v2, v3
	s_branch .LBB17_241
.LBB17_238:
	s_mov_b64 s[0:1], -1
                                        ; implicit-def: $vgpr2
	s_branch .LBB17_247
.LBB17_239:
	s_mov_b64 s[0:1], -1
                                        ; implicit-def: $vgpr2
	s_branch .LBB17_244
.LBB17_240:
	s_mov_b64 s[0:1], -1
                                        ; implicit-def: $vgpr2
.LBB17_241:
	s_andn2_b64 vcc, exec, s[0:1]
	s_cbranch_vccnz .LBB17_243
; %bb.242:
	global_load_dword v2, v[0:1], off
	s_waitcnt vmcnt(0)
	v_cvt_f32_i32_e32 v2, v2
.LBB17_243:
	s_mov_b64 s[0:1], 0
.LBB17_244:
	s_andn2_b64 vcc, exec, s[0:1]
	s_cbranch_vccnz .LBB17_246
; %bb.245:
	global_load_sshort v2, v[0:1], off
	s_waitcnt vmcnt(0)
	v_cvt_f32_i32_e32 v2, v2
.LBB17_246:
	s_mov_b64 s[0:1], 0
.LBB17_247:
	s_andn2_b64 vcc, exec, s[0:1]
	s_cbranch_vccnz .LBB17_253
; %bb.248:
	v_cmp_lt_i16_e32 vcc, 0, v9
	s_cbranch_vccz .LBB17_250
; %bb.249:
	global_load_sbyte v2, v[0:1], off
	s_mov_b64 s[0:1], 0
	s_waitcnt vmcnt(0)
	v_cvt_f32_i32_e32 v2, v2
	s_branch .LBB17_251
.LBB17_250:
	s_mov_b64 s[0:1], -1
                                        ; implicit-def: $vgpr2
.LBB17_251:
	s_andn2_b64 vcc, exec, s[0:1]
	s_cbranch_vccnz .LBB17_253
; %bb.252:
	global_load_ubyte v0, v[0:1], off
	s_waitcnt vmcnt(0)
	v_cvt_f32_ubyte0_e32 v2, v0
.LBB17_253:
	s_branch .LBB17_11
.LBB17_254:
	s_mov_b64 s[0:1], 0
                                        ; implicit-def: $vgpr8
	s_mov_b64 s[18:19], 0
.LBB17_255:
	s_and_b64 s[6:7], s[0:1], exec
	s_and_b64 s[14:15], s[14:15], exec
	s_orn2_b64 s[18:19], s[18:19], exec
.LBB17_256:
	s_or_b64 exec, exec, s[16:17]
	s_mov_b64 s[22:23], 0
	s_mov_b64 s[0:1], 0
                                        ; implicit-def: $vgpr0_vgpr1
                                        ; implicit-def: $vgpr5
	s_and_saveexec_b64 s[16:17], s[18:19]
	s_cbranch_execz .LBB17_265
; %bb.257:
	v_cmp_gt_i32_e32 vcc, s33, v8
	s_mov_b64 s[0:1], -1
	s_mov_b64 s[18:19], s[14:15]
	s_mov_b64 s[20:21], s[6:7]
	s_and_saveexec_b64 s[22:23], vcc
	s_cbranch_execz .LBB17_521
; %bb.258:
	v_mul_lo_u32 v0, v8, s13
	v_ashrrev_i32_e32 v1, 31, v0
	s_waitcnt vmcnt(0)
	v_mov_b32_e32 v2, s11
	v_add_co_u32_e32 v0, vcc, s10, v0
	v_addc_co_u32_e32 v1, vcc, v2, v1, vcc
	v_cmp_gt_i16_e32 vcc, 11, v9
	s_cbranch_vccnz .LBB17_268
; %bb.259:
	v_cmp_lt_i16_e32 vcc, 25, v9
	s_cbranch_vccz .LBB17_281
; %bb.260:
	v_cmp_lt_i16_e32 vcc, 28, v9
	s_cbranch_vccz .LBB17_283
; %bb.261:
	v_cmp_lt_i16_e32 vcc, 43, v9
	s_cbranch_vccz .LBB17_285
; %bb.262:
	v_cmp_lt_i16_e32 vcc, 45, v9
	s_cbranch_vccz .LBB17_289
; %bb.263:
	v_cmp_eq_u16_e32 vcc, 46, v9
	s_mov_b64 s[20:21], 0
	s_cbranch_vccz .LBB17_293
; %bb.264:
	global_load_dword v2, v[0:1], off
	s_mov_b64 s[18:19], 0
	s_waitcnt vmcnt(0)
	v_lshlrev_b32_e32 v2, 16, v2
	s_branch .LBB17_294
.LBB17_265:
	s_or_b64 exec, exec, s[16:17]
	s_mov_b64 s[16:17], 0
	s_and_saveexec_b64 s[18:19], s[14:15]
	s_cbranch_execnz .LBB17_871
.LBB17_266:
	s_or_b64 exec, exec, s[18:19]
	s_and_saveexec_b64 s[14:15], s[20:21]
	s_xor_b64 s[14:15], exec, s[14:15]
	s_cbranch_execz .LBB17_872
.LBB17_267:
	global_load_ubyte v2, v[0:1], off
	s_or_b64 s[0:1], s[0:1], exec
	s_waitcnt vmcnt(0)
	v_cmp_ne_u16_e32 vcc, 0, v2
	v_cndmask_b32_e64 v5, 0, 1.0, vcc
	s_or_b64 exec, exec, s[14:15]
	s_and_saveexec_b64 s[14:15], s[22:23]
	s_cbranch_execz .LBB17_918
	s_branch .LBB17_873
.LBB17_268:
	s_mov_b64 s[0:1], 0
                                        ; implicit-def: $vgpr2
	s_mov_b64 s[18:19], s[14:15]
	s_cbranch_execnz .LBB17_471
.LBB17_269:
	s_andn2_b64 vcc, exec, s[0:1]
	s_cbranch_vccnz .LBB17_519
.LBB17_270:
	s_mov_b32 s0, 0x41000000
	s_waitcnt vmcnt(0)
	v_cmp_le_f32_e64 s[0:1], |v2|, s0
                                        ; implicit-def: $vgpr0
	s_and_saveexec_b64 s[20:21], s[0:1]
	s_xor_b64 s[0:1], exec, s[20:21]
	s_cbranch_execz .LBB17_272
; %bb.271:
	v_fma_f32 v0, |v2|, 0.5, -2.0
	v_mov_b32_e32 v1, 0x24199b15
	v_fmac_f32_e32 v1, 0xa2a2e5b9, v0
	v_mov_b32_e32 v3, 0x22a2e5b9
	v_fmac_f32_e32 v3, v0, v1
	v_add_f32_e32 v3, 0xa58c275c, v3
	v_fma_f32 v1, v0, v3, -v1
	v_add_f32_e32 v1, 0x26f736c5, v1
	v_fma_f32 v3, v0, v1, -v3
	;; [unrolled: 2-line block ×22, first 2 shown]
	v_add_f32_e32 v3, 0xbcc274f8, v3
	s_mov_b32 s20, 0x3fb8aa3b
	v_fma_f32 v1, v0, v3, -v1
	v_mul_f32_e64 v4, |v2|, s20
	v_add_f32_e32 v1, 0x3d49f456, v1
	v_rndne_f32_e32 v5, v4
	v_fma_f32 v3, v0, v1, -v3
	v_sub_f32_e32 v6, v4, v5
	v_fma_f32 v4, |v2|, s20, -v4
	s_mov_b32 s20, 0x32a5705f
	v_add_f32_e32 v3, 0xbdc25b82, v3
	v_fma_f32 v4, |v2|, s20, v4
	v_fma_f32 v1, v0, v3, -v1
	v_add_f32_e32 v4, v6, v4
	v_add_f32_e32 v1, 0x3e2fbd64, v1
	v_exp_f32_e32 v4, v4
	v_cvt_i32_f32_e32 v5, v5
	v_fma_f32 v3, v0, v1, -v3
	v_add_f32_e32 v3, 0xbe9bff5e, v3
	v_fma_f32 v0, v0, v3, -v1
	s_mov_b32 s20, 0xc2ce8ed0
	v_add_f32_e32 v0, 0x3f2d4275, v0
	v_ldexp_f32 v3, v4, v5
	v_cmp_nlt_f32_e64 vcc, |v2|, s20
	s_mov_b32 s20, 0x42b17218
	v_cndmask_b32_e32 v3, 0, v3, vcc
	v_mov_b32_e32 v4, 0x7f800000
	v_cmp_ngt_f32_e64 vcc, |v2|, s20
	v_sub_f32_e32 v0, v0, v1
	v_cndmask_b32_e32 v2, v4, v3, vcc
	v_mul_f32_e32 v0, 0.5, v0
	v_mul_f32_e32 v0, v2, v0
                                        ; implicit-def: $vgpr2
.LBB17_272:
	s_andn2_saveexec_b64 s[20:21], s[0:1]
	s_cbranch_execz .LBB17_274
; %bb.273:
	v_and_b32_e32 v0, 0x7fffffff, v2
	s_mov_b32 s24, 0x42000000
	v_div_scale_f32 v1, s[0:1], v0, v0, s24
	v_rcp_f32_e32 v3, v1
	v_div_scale_f32 v0, vcc, s24, v0, s24
	s_mov_b32 s0, 0x3fb8aa3b
	v_fma_f32 v4, -v1, v3, 1.0
	v_fmac_f32_e32 v3, v4, v3
	v_mul_f32_e32 v4, v0, v3
	v_fma_f32 v5, -v1, v4, v0
	v_fmac_f32_e32 v4, v5, v3
	v_fma_f32 v0, -v1, v4, v0
	v_div_fmas_f32 v0, v0, v3, v4
	v_div_fixup_f32 v0, v0, |v2|, s24
	v_add_f32_e32 v0, -2.0, v0
	v_mov_b32_e32 v1, 0xa2b236d3
	v_fmac_f32_e32 v1, 0xa3056dbb, v0
	v_mov_b32_e32 v3, 0x23056dbb
	v_fmac_f32_e32 v3, v0, v1
	v_add_f32_e32 v3, 0x244df0c1, v3
	v_fma_f32 v1, v0, v3, -v1
	v_add_f32_e32 v1, 0x241f9ee8, v1
	v_fma_f32 v3, v0, v1, -v3
	;; [unrolled: 2-line block ×17, first 2 shown]
	v_add_f32_e32 v1, 0x32c2b494, v1
	v_mul_f32_e64 v4, |v2|, s0
	v_fma_f32 v3, v0, v1, -v3
	v_rndne_f32_e32 v5, v4
	v_add_f32_e32 v3, 0x345c003f, v3
	v_sub_f32_e32 v6, v4, v5
	v_fma_f32 v4, |v2|, s0, -v4
	s_mov_b32 s0, 0x32a5705f
	v_fma_f32 v1, v0, v3, -v1
	v_fma_f32 v4, |v2|, s0, v4
	v_add_f32_e32 v1, 0x3642095e, v1
	v_add_f32_e32 v4, v6, v4
	v_fma_f32 v3, v0, v1, -v3
	v_exp_f32_e32 v4, v4
	v_cvt_i32_f32_e32 v5, v5
	v_add_f32_e32 v3, 0x38907d1c, v3
	v_fma_f32 v1, v0, v3, -v1
	v_add_f32_e32 v1, 0x3b5ccc65, v1
	s_mov_b32 s0, 0xc2ce8ed0
	v_fma_f32 v0, v0, v1, -v3
	v_ldexp_f32 v1, v4, v5
	v_cmp_nlt_f32_e64 vcc, |v2|, s0
	s_mov_b32 s0, 0x42b17218
	v_cndmask_b32_e32 v1, 0, v1, vcc
	v_mov_b32_e32 v4, 0x7f800000
	v_cmp_ngt_f32_e64 vcc, |v2|, s0
	s_mov_b32 s0, 0xf800000
	s_mov_b32 s1, 0x4f800000
	v_cndmask_b32_e32 v1, v4, v1, vcc
	v_mul_f32_e64 v4, |v2|, s1
	v_cmp_lt_f32_e64 vcc, |v2|, s0
	v_cndmask_b32_e64 v2, |v2|, v4, vcc
	v_sqrt_f32_e32 v4, v2
	v_add_f32_e32 v0, 0x3f4df315, v0
	v_sub_f32_e32 v0, v0, v3
	v_mul_f32_e32 v0, 0.5, v0
	v_mul_f32_e32 v0, v1, v0
	v_add_u32_e32 v1, -1, v4
	v_fma_f32 v3, -v1, v4, v2
	v_cmp_ge_f32_e64 s[0:1], 0, v3
	v_add_u32_e32 v3, 1, v4
	v_cndmask_b32_e64 v1, v4, v1, s[0:1]
	v_fma_f32 v4, -v3, v4, v2
	v_cmp_lt_f32_e64 s[0:1], 0, v4
	v_cndmask_b32_e64 v1, v1, v3, s[0:1]
	v_mul_f32_e32 v3, 0x37800000, v1
	v_cndmask_b32_e32 v1, v1, v3, vcc
	v_mov_b32_e32 v3, 0x260
	v_cmp_class_f32_e32 vcc, v2, v3
	v_cndmask_b32_e32 v1, v1, v2, vcc
	v_div_scale_f32 v2, s[0:1], v1, v1, v0
	v_rcp_f32_e32 v3, v2
	v_fma_f32 v4, -v2, v3, 1.0
	v_fmac_f32_e32 v3, v4, v3
	v_div_scale_f32 v4, vcc, v0, v1, v0
	v_mul_f32_e32 v5, v4, v3
	v_fma_f32 v6, -v2, v5, v4
	v_fmac_f32_e32 v5, v6, v3
	v_fma_f32 v2, -v2, v5, v4
	v_div_fmas_f32 v2, v2, v3, v5
	v_div_fixup_f32 v0, v2, v1, v0
.LBB17_274:
	s_or_b64 exec, exec, s[20:21]
	v_mul_lo_u32 v1, v8, s12
	v_ashrrev_i32_e32 v3, 31, v1
	v_mov_b32_e32 v4, s9
	v_add_co_u32_e32 v2, vcc, s8, v1
	v_mov_b32_e32 v1, 11
	v_addc_co_u32_e32 v3, vcc, v4, v3, vcc
	v_cmp_lt_i16_sdwa s[0:1], v10, v1 src0_sel:BYTE_0 src1_sel:DWORD
	s_and_b64 vcc, exec, s[0:1]
	s_cbranch_vccnz .LBB17_282
; %bb.275:
	v_mov_b32_e32 v1, 25
	v_cmp_gt_i16_sdwa s[0:1], v10, v1 src0_sel:BYTE_0 src1_sel:DWORD
	s_and_b64 vcc, exec, s[0:1]
	s_cbranch_vccz .LBB17_284
; %bb.276:
	v_mov_b32_e32 v1, 28
	v_cmp_gt_i16_sdwa s[0:1], v10, v1 src0_sel:BYTE_0 src1_sel:DWORD
	s_and_b64 vcc, exec, s[0:1]
	s_cbranch_vccz .LBB17_286
	;; [unrolled: 5-line block ×4, first 2 shown]
; %bb.279:
	v_mov_b32_e32 v1, 46
	v_cmp_eq_u16_sdwa s[20:21], v10, v1 src0_sel:BYTE_0 src1_sel:DWORD
	s_mov_b64 s[24:25], 0
	s_mov_b64 s[0:1], -1
	s_and_b64 vcc, exec, s[20:21]
	s_mov_b64 s[20:21], 0
	s_cbranch_vccz .LBB17_298
; %bb.280:
	v_bfe_u32 v1, v0, 16, 1
	s_movk_i32 s0, 0x7fff
	v_add3_u32 v1, v0, v1, s0
	v_lshrrev_b32_e32 v1, 16, v1
	v_mov_b32_e32 v4, 0x7fc0
	v_cmp_o_f32_e32 vcc, v0, v0
	v_cndmask_b32_e32 v1, v4, v1, vcc
	global_store_dword v[2:3], v1, off
	s_mov_b64 s[20:21], -1
	s_mov_b64 s[0:1], 0
	s_branch .LBB17_298
.LBB17_281:
	s_mov_b64 s[20:21], -1
	s_mov_b64 s[0:1], 0
	s_mov_b64 s[18:19], s[14:15]
                                        ; implicit-def: $vgpr2
	s_branch .LBB17_435
.LBB17_282:
	s_mov_b64 s[24:25], -1
	s_mov_b64 s[20:21], 0
	s_mov_b64 s[0:1], s[6:7]
	s_branch .LBB17_367
.LBB17_283:
	s_mov_b64 s[20:21], -1
	s_mov_b64 s[0:1], 0
	s_mov_b64 s[18:19], s[14:15]
                                        ; implicit-def: $vgpr2
	s_branch .LBB17_416
.LBB17_284:
	s_mov_b64 s[24:25], -1
	s_mov_b64 s[20:21], 0
	s_mov_b64 s[0:1], s[6:7]
	s_branch .LBB17_325
.LBB17_285:
	s_mov_b64 s[20:21], -1
	s_mov_b64 s[0:1], 0
	s_mov_b64 s[18:19], s[14:15]
                                        ; implicit-def: $vgpr2
	s_branch .LBB17_411
.LBB17_286:
	s_mov_b64 s[24:25], -1
	s_mov_b64 s[20:21], 0
	s_mov_b64 s[0:1], s[6:7]
	s_branch .LBB17_308
.LBB17_287:
	s_or_saveexec_b64 s[22:23], s[22:23]
                                        ; implicit-def: $sgpr24
	s_xor_b64 exec, exec, s[22:23]
	s_cbranch_execz .LBB17_59
.LBB17_288:
	s_mov_b32 s24, 0x46000000
	v_add_f32_e64 v1, |v0|, s24
	v_and_b32_e32 v1, 0xff, v1
	v_cmp_ne_u32_e32 vcc, 0, v1
	s_andn2_b64 s[18:19], s[18:19], exec
	s_and_b64 s[26:27], vcc, exec
	s_mov_b32 s24, 0
	s_or_b64 s[18:19], s[18:19], s[26:27]
	s_or_b64 exec, exec, s[22:23]
	v_mov_b32_e32 v4, s24
	s_and_saveexec_b64 s[22:23], s[18:19]
	s_cbranch_execnz .LBB17_60
	s_branch .LBB17_61
.LBB17_289:
	s_mov_b64 s[20:21], -1
	s_mov_b64 s[0:1], 0
	s_mov_b64 s[18:19], s[14:15]
                                        ; implicit-def: $vgpr2
	s_branch .LBB17_294
.LBB17_290:
	s_mov_b64 s[24:25], -1
	s_mov_b64 s[20:21], 0
	s_mov_b64 s[0:1], s[6:7]
	s_branch .LBB17_304
.LBB17_291:
	s_or_saveexec_b64 s[22:23], s[22:23]
                                        ; implicit-def: $sgpr24
	s_xor_b64 exec, exec, s[22:23]
	s_cbranch_execz .LBB17_72
.LBB17_292:
	s_mov_b32 s24, 0x42800000
	v_add_f32_e64 v1, |v0|, s24
	v_and_b32_e32 v1, 0xff, v1
	v_cmp_ne_u32_e32 vcc, 0, v1
	s_andn2_b64 s[18:19], s[18:19], exec
	s_and_b64 s[26:27], vcc, exec
	s_mov_b32 s24, 0
	s_or_b64 s[18:19], s[18:19], s[26:27]
	s_or_b64 exec, exec, s[22:23]
	v_mov_b32_e32 v4, s24
	s_and_saveexec_b64 s[22:23], s[18:19]
	s_cbranch_execnz .LBB17_73
	s_branch .LBB17_74
.LBB17_293:
	s_mov_b64 s[18:19], -1
                                        ; implicit-def: $vgpr2
	s_mov_b64 s[0:1], 0
.LBB17_294:
	s_and_b64 vcc, exec, s[20:21]
	s_cbranch_vccz .LBB17_410
; %bb.295:
	v_cmp_eq_u16_e32 vcc, 44, v9
	s_cbranch_vccz .LBB17_409
; %bb.296:
	global_load_ubyte v2, v[0:1], off
	s_movk_i32 s18, 0xff
	v_mov_b32_e32 v3, 0x7f800001
	v_mov_b32_e32 v4, 0x400000
	s_mov_b64 s[0:1], -1
	s_waitcnt vmcnt(0)
	v_lshlrev_b32_e32 v5, 23, v2
	v_cmp_ne_u32_e32 vcc, s18, v2
	v_cndmask_b32_e32 v3, v3, v5, vcc
	v_cmp_ne_u32_e32 vcc, 0, v2
	v_cndmask_b32_e32 v2, v4, v3, vcc
	s_mov_b64 s[18:19], 0
	s_branch .LBB17_410
.LBB17_297:
	s_mov_b64 s[24:25], -1
	s_mov_b64 s[20:21], 0
	s_mov_b64 s[0:1], s[6:7]
.LBB17_298:
	s_and_b64 vcc, exec, s[24:25]
	s_cbranch_vccz .LBB17_303
; %bb.299:
	v_mov_b32_e32 v1, 44
	v_cmp_eq_u16_sdwa s[24:25], v10, v1 src0_sel:BYTE_0 src1_sel:DWORD
	s_mov_b64 s[0:1], -1
	s_and_b64 vcc, exec, s[24:25]
	s_cbranch_vccz .LBB17_303
; %bb.300:
	v_bfe_u32 v1, v0, 23, 8
	s_movk_i32 s0, 0xff
	v_cmp_ne_u32_e32 vcc, s0, v1
	v_mov_b32_e32 v4, 0xff
	s_and_saveexec_b64 s[20:21], vcc
; %bb.301:
	s_mov_b32 s0, 0x3fffff
	v_and_b32_e32 v5, 0x400000, v0
	v_and_or_b32 v1, v0, s0, v1
	v_cmp_ne_u32_e32 vcc, 0, v5
	v_cmp_ne_u32_e64 s[0:1], 0, v1
	s_and_b64 s[0:1], vcc, s[0:1]
	v_lshrrev_b32_e32 v4, 23, v0
	v_cndmask_b32_e64 v1, 0, 1, s[0:1]
	v_add_u32_e32 v4, v4, v1
; %bb.302:
	s_or_b64 exec, exec, s[20:21]
	s_mov_b64 s[20:21], -1
	s_mov_b64 s[0:1], 0
	global_store_byte v[2:3], v4, off
.LBB17_303:
	s_mov_b64 s[24:25], 0
.LBB17_304:
	s_and_b64 vcc, exec, s[24:25]
	s_cbranch_vccz .LBB17_307
; %bb.305:
	v_mov_b32_e32 v1, 29
	v_cmp_eq_u16_sdwa s[24:25], v10, v1 src0_sel:BYTE_0 src1_sel:DWORD
	s_mov_b64 s[0:1], -1
	s_and_b64 vcc, exec, s[24:25]
	s_cbranch_vccz .LBB17_307
; %bb.306:
	v_trunc_f32_e32 v1, v0
	v_mul_f32_e32 v4, 0x2f800000, v1
	v_floor_f32_e32 v4, v4
	v_fmac_f32_e32 v1, 0xcf800000, v4
	v_cvt_u32_f32_e32 v5, v4
	v_cvt_u32_f32_e32 v4, v1
	s_mov_b64 s[20:21], -1
	s_mov_b64 s[0:1], 0
	s_mov_b64 s[24:25], 0
	global_store_dwordx2 v[2:3], v[4:5], off
	s_branch .LBB17_308
.LBB17_307:
	s_mov_b64 s[24:25], 0
.LBB17_308:
	s_and_b64 vcc, exec, s[24:25]
	s_cbranch_vccz .LBB17_324
; %bb.309:
	v_mov_b32_e32 v1, 27
	v_cmp_lt_i16_sdwa s[24:25], v10, v1 src0_sel:BYTE_0 src1_sel:DWORD
	s_mov_b64 s[20:21], -1
	s_and_b64 vcc, exec, s[24:25]
	s_cbranch_vccnz .LBB17_315
; %bb.310:
	v_cmp_gt_i16_sdwa s[24:25], v10, v1 src0_sel:BYTE_0 src1_sel:DWORD
	v_cvt_u32_f32_e32 v1, v0
	s_and_b64 vcc, exec, s[24:25]
	s_cbranch_vccz .LBB17_312
; %bb.311:
	s_mov_b64 s[20:21], 0
	global_store_dword v[2:3], v1, off
.LBB17_312:
	s_andn2_b64 vcc, exec, s[20:21]
	s_cbranch_vccnz .LBB17_314
; %bb.313:
	global_store_short v[2:3], v1, off
.LBB17_314:
	s_mov_b64 s[20:21], 0
.LBB17_315:
	s_andn2_b64 vcc, exec, s[20:21]
	s_cbranch_vccnz .LBB17_323
; %bb.316:
	v_and_b32_e32 v1, 0x7fffffff, v0
	s_mov_b32 s20, 0x43800000
	v_cmp_gt_u32_e32 vcc, s20, v1
	v_mov_b32_e32 v4, 0x80
	s_and_saveexec_b64 s[20:21], vcc
	s_cbranch_execz .LBB17_322
; %bb.317:
	s_mov_b32 s24, 0x3bffffff
	v_cmp_lt_u32_e32 vcc, s24, v1
	s_mov_b64 s[24:25], 0
                                        ; implicit-def: $vgpr1
	s_and_saveexec_b64 s[26:27], vcc
	s_xor_b64 s[26:27], exec, s[26:27]
	s_cbranch_execz .LBB17_534
; %bb.318:
	v_bfe_u32 v1, v0, 20, 1
	s_mov_b32 s28, 0x487ffff
	v_add3_u32 v1, v0, v1, s28
	s_mov_b64 s[24:25], exec
	v_lshrrev_b32_e32 v1, 20, v1
	s_or_saveexec_b64 s[26:27], s[26:27]
                                        ; implicit-def: $sgpr28
	s_xor_b64 exec, exec, s[26:27]
	s_cbranch_execnz .LBB17_535
.LBB17_319:
	s_or_b64 exec, exec, s[26:27]
	v_mov_b32_e32 v4, s28
	s_and_saveexec_b64 s[26:27], s[24:25]
.LBB17_320:
	v_lshrrev_b32_e32 v4, 24, v0
	s_movk_i32 s24, 0x80
	v_and_or_b32 v4, v4, s24, v1
.LBB17_321:
	s_or_b64 exec, exec, s[26:27]
.LBB17_322:
	s_or_b64 exec, exec, s[20:21]
	global_store_byte v[2:3], v4, off
.LBB17_323:
	s_mov_b64 s[20:21], -1
.LBB17_324:
	s_mov_b64 s[24:25], 0
.LBB17_325:
	s_and_b64 vcc, exec, s[24:25]
	s_cbranch_vccz .LBB17_366
; %bb.326:
	v_mov_b32_e32 v1, 22
	v_cmp_gt_i16_sdwa s[26:27], v10, v1 src0_sel:BYTE_0 src1_sel:DWORD
	s_mov_b64 s[24:25], -1
	s_and_b64 vcc, exec, s[26:27]
	s_cbranch_vccz .LBB17_358
; %bb.327:
	v_mov_b32_e32 v1, 24
	v_cmp_lt_i16_sdwa s[24:25], v10, v1 src0_sel:BYTE_0 src1_sel:DWORD
	s_mov_b64 s[20:21], -1
	s_and_b64 vcc, exec, s[24:25]
	s_cbranch_vccnz .LBB17_347
; %bb.328:
	v_cmp_gt_i16_sdwa s[24:25], v10, v1 src0_sel:BYTE_0 src1_sel:DWORD
	s_and_b64 vcc, exec, s[24:25]
	s_cbranch_vccz .LBB17_336
; %bb.329:
	v_and_b32_e32 v1, 0x7fffffff, v0
	s_mov_b32 s20, 0x47800000
	v_cmp_gt_u32_e32 vcc, s20, v1
	v_mov_b32_e32 v4, 0x80
	s_and_saveexec_b64 s[20:21], vcc
	s_cbranch_execz .LBB17_335
; %bb.330:
	s_mov_b32 s24, 0x37ffffff
	v_cmp_lt_u32_e32 vcc, s24, v1
	s_mov_b64 s[24:25], 0
                                        ; implicit-def: $vgpr1
	s_and_saveexec_b64 s[26:27], vcc
	s_xor_b64 s[26:27], exec, s[26:27]
	s_cbranch_execz .LBB17_537
; %bb.331:
	v_bfe_u32 v1, v0, 21, 1
	s_mov_b32 s28, 0x88fffff
	v_add3_u32 v1, v0, v1, s28
	s_mov_b64 s[24:25], exec
	v_lshrrev_b32_e32 v1, 21, v1
	s_or_saveexec_b64 s[26:27], s[26:27]
                                        ; implicit-def: $sgpr28
	s_xor_b64 exec, exec, s[26:27]
	s_cbranch_execnz .LBB17_538
.LBB17_332:
	s_or_b64 exec, exec, s[26:27]
	v_mov_b32_e32 v4, s28
	s_and_saveexec_b64 s[26:27], s[24:25]
.LBB17_333:
	v_lshrrev_b32_e32 v4, 24, v0
	s_movk_i32 s24, 0x80
	v_and_or_b32 v4, v4, s24, v1
.LBB17_334:
	s_or_b64 exec, exec, s[26:27]
.LBB17_335:
	s_or_b64 exec, exec, s[20:21]
	s_mov_b64 s[20:21], 0
	global_store_byte v[2:3], v4, off
.LBB17_336:
	s_and_b64 vcc, exec, s[20:21]
	s_cbranch_vccz .LBB17_346
; %bb.337:
	v_and_b32_e32 v4, 0x7fffffff, v0
	s_mov_b32 s20, 0x43f00000
	v_cmp_gt_u32_e32 vcc, s20, v4
                                        ; implicit-def: $vgpr1
	s_and_saveexec_b64 s[20:21], vcc
	s_xor_b64 s[20:21], exec, s[20:21]
	s_cbranch_execz .LBB17_343
; %bb.338:
	s_mov_b32 s24, 0x3c7fffff
	v_cmp_lt_u32_e32 vcc, s24, v4
                                        ; implicit-def: $vgpr1
	s_and_saveexec_b64 s[24:25], vcc
	s_xor_b64 s[24:25], exec, s[24:25]
; %bb.339:
	v_bfe_u32 v1, v0, 20, 1
	s_mov_b32 s26, 0x407ffff
	v_add3_u32 v1, v0, v1, s26
	v_lshrrev_b32_e32 v4, 20, v1
	v_and_b32_e32 v1, 0xff00000, v1
	s_mov_b32 s26, 0x7f00000
	v_mov_b32_e32 v5, 0x7e
	v_cmp_ne_u32_e32 vcc, s26, v1
	v_cndmask_b32_e32 v1, v5, v4, vcc
; %bb.340:
	s_andn2_saveexec_b64 s[24:25], s[24:25]
; %bb.341:
	s_mov_b32 s26, 0x46800000
	v_add_f32_e64 v1, |v0|, s26
; %bb.342:
	s_or_b64 exec, exec, s[24:25]
                                        ; implicit-def: $vgpr4
.LBB17_343:
	s_andn2_saveexec_b64 s[20:21], s[20:21]
; %bb.344:
	s_mov_b32 s24, 0x7f800000
	v_mov_b32_e32 v1, 0x7e
	v_mov_b32_e32 v5, 0x7f
	v_cmp_lt_u32_e32 vcc, s24, v4
	v_cndmask_b32_e32 v1, v1, v5, vcc
; %bb.345:
	s_or_b64 exec, exec, s[20:21]
	v_lshrrev_b32_e32 v4, 24, v0
	s_movk_i32 s20, 0x80
	v_and_or_b32 v1, v4, s20, v1
	global_store_byte v[2:3], v1, off
.LBB17_346:
	s_mov_b64 s[20:21], 0
.LBB17_347:
	s_andn2_b64 vcc, exec, s[20:21]
	s_cbranch_vccnz .LBB17_357
; %bb.348:
	v_and_b32_e32 v4, 0x7fffffff, v0
	s_mov_b32 s20, 0x47800000
	v_cmp_gt_u32_e32 vcc, s20, v4
                                        ; implicit-def: $vgpr1
	s_and_saveexec_b64 s[20:21], vcc
	s_xor_b64 s[20:21], exec, s[20:21]
	s_cbranch_execz .LBB17_354
; %bb.349:
	s_mov_b32 s24, 0x387fffff
	v_cmp_lt_u32_e32 vcc, s24, v4
                                        ; implicit-def: $vgpr1
	s_and_saveexec_b64 s[24:25], vcc
	s_xor_b64 s[24:25], exec, s[24:25]
; %bb.350:
	v_bfe_u32 v1, v0, 21, 1
	s_mov_b32 s26, 0x80fffff
	v_add3_u32 v1, v0, v1, s26
	v_lshrrev_b32_e32 v1, 21, v1
; %bb.351:
	s_andn2_saveexec_b64 s[24:25], s[24:25]
; %bb.352:
	s_mov_b32 s26, 0x43000000
	v_add_f32_e64 v1, |v0|, s26
; %bb.353:
	s_or_b64 exec, exec, s[24:25]
                                        ; implicit-def: $vgpr4
.LBB17_354:
	s_andn2_saveexec_b64 s[20:21], s[20:21]
; %bb.355:
	s_mov_b32 s24, 0x7f800000
	v_mov_b32_e32 v1, 0x7c
	v_mov_b32_e32 v5, 0x7f
	v_cmp_lt_u32_e32 vcc, s24, v4
	v_cndmask_b32_e32 v1, v1, v5, vcc
; %bb.356:
	s_or_b64 exec, exec, s[20:21]
	v_lshrrev_b32_e32 v4, 24, v0
	s_movk_i32 s20, 0x80
	v_and_or_b32 v1, v4, s20, v1
	global_store_byte v[2:3], v1, off
.LBB17_357:
	s_mov_b64 s[24:25], 0
	s_mov_b64 s[20:21], -1
.LBB17_358:
	s_andn2_b64 vcc, exec, s[24:25]
	s_cbranch_vccnz .LBB17_366
; %bb.359:
	v_mov_b32_e32 v1, 14
	v_cmp_gt_i16_sdwa s[26:27], v10, v1 src0_sel:BYTE_0 src1_sel:DWORD
	s_mov_b64 s[24:25], -1
	s_and_b64 vcc, exec, s[26:27]
	s_cbranch_vccz .LBB17_363
; %bb.360:
	v_mov_b32_e32 v1, 15
	v_cmp_eq_u16_sdwa s[24:25], v10, v1 src0_sel:BYTE_0 src1_sel:DWORD
	s_mov_b64 s[0:1], -1
	s_and_b64 vcc, exec, s[24:25]
	s_cbranch_vccz .LBB17_362
; %bb.361:
	v_bfe_u32 v1, v0, 16, 1
	s_movk_i32 s0, 0x7fff
	v_add3_u32 v1, v0, v1, s0
	v_lshrrev_b32_e32 v1, 16, v1
	v_mov_b32_e32 v4, 0x7fc0
	v_cmp_o_f32_e32 vcc, v0, v0
	v_cndmask_b32_e32 v1, v4, v1, vcc
	global_store_short v[2:3], v1, off
	s_mov_b64 s[20:21], -1
	s_mov_b64 s[0:1], 0
.LBB17_362:
	s_mov_b64 s[24:25], 0
.LBB17_363:
	s_and_b64 vcc, exec, s[24:25]
	s_cbranch_vccz .LBB17_366
; %bb.364:
	v_mov_b32_e32 v1, 11
	v_cmp_eq_u16_sdwa s[24:25], v10, v1 src0_sel:BYTE_0 src1_sel:DWORD
	s_mov_b64 s[0:1], -1
	s_and_b64 vcc, exec, s[24:25]
	s_cbranch_vccz .LBB17_366
; %bb.365:
	v_cmp_neq_f32_e32 vcc, 0, v0
	v_cndmask_b32_e64 v1, 0, 1, vcc
	s_mov_b64 s[20:21], -1
	s_mov_b64 s[0:1], 0
	global_store_byte v[2:3], v1, off
.LBB17_366:
	s_mov_b64 s[24:25], 0
.LBB17_367:
	s_and_b64 vcc, exec, s[24:25]
	s_cbranch_vccz .LBB17_406
; %bb.368:
	v_mov_b32_e32 v1, 5
	v_cmp_lt_i16_sdwa s[24:25], v10, v1 src0_sel:BYTE_0 src1_sel:DWORD
	s_mov_b64 s[20:21], -1
	s_and_b64 vcc, exec, s[24:25]
	s_cbranch_vccnz .LBB17_389
; %bb.369:
	v_mov_b32_e32 v1, 8
	v_cmp_lt_i16_sdwa s[24:25], v10, v1 src0_sel:BYTE_0 src1_sel:DWORD
	s_and_b64 vcc, exec, s[24:25]
	s_cbranch_vccnz .LBB17_379
; %bb.370:
	v_mov_b32_e32 v1, 9
	v_cmp_lt_i16_sdwa s[24:25], v10, v1 src0_sel:BYTE_0 src1_sel:DWORD
	s_and_b64 vcc, exec, s[24:25]
	s_cbranch_vccnz .LBB17_376
; %bb.371:
	v_cmp_gt_i16_sdwa s[24:25], v10, v1 src0_sel:BYTE_0 src1_sel:DWORD
	s_and_b64 vcc, exec, s[24:25]
	s_cbranch_vccz .LBB17_373
; %bb.372:
	v_mov_b32_e32 v6, 0
	v_cvt_f64_f32_e32 v[4:5], v0
	v_mov_b32_e32 v7, v6
	s_mov_b64 s[20:21], 0
	global_store_dwordx4 v[2:3], v[4:7], off
.LBB17_373:
	s_andn2_b64 vcc, exec, s[20:21]
	s_cbranch_vccnz .LBB17_375
; %bb.374:
	v_mov_b32_e32 v1, 0
	global_store_dwordx2 v[2:3], v[0:1], off
.LBB17_375:
	s_mov_b64 s[20:21], 0
.LBB17_376:
	s_andn2_b64 vcc, exec, s[20:21]
	s_cbranch_vccnz .LBB17_378
; %bb.377:
	v_cvt_f16_f32_e32 v1, v0
	global_store_dword v[2:3], v1, off
.LBB17_378:
	s_mov_b64 s[20:21], 0
.LBB17_379:
	s_andn2_b64 vcc, exec, s[20:21]
	s_cbranch_vccnz .LBB17_388
; %bb.380:
	v_mov_b32_e32 v1, 6
	v_cmp_lt_i16_sdwa s[24:25], v10, v1 src0_sel:BYTE_0 src1_sel:DWORD
	s_mov_b64 s[20:21], -1
	s_and_b64 vcc, exec, s[24:25]
	s_cbranch_vccnz .LBB17_386
; %bb.381:
	v_cmp_gt_i16_sdwa s[24:25], v10, v1 src0_sel:BYTE_0 src1_sel:DWORD
	s_and_b64 vcc, exec, s[24:25]
	s_cbranch_vccz .LBB17_383
; %bb.382:
	v_cvt_f64_f32_e32 v[4:5], v0
	s_mov_b64 s[20:21], 0
	global_store_dwordx2 v[2:3], v[4:5], off
.LBB17_383:
	s_andn2_b64 vcc, exec, s[20:21]
	s_cbranch_vccnz .LBB17_385
; %bb.384:
	global_store_dword v[2:3], v0, off
.LBB17_385:
	s_mov_b64 s[20:21], 0
.LBB17_386:
	s_andn2_b64 vcc, exec, s[20:21]
	s_cbranch_vccnz .LBB17_388
; %bb.387:
	v_cvt_f16_f32_e32 v1, v0
	global_store_short v[2:3], v1, off
.LBB17_388:
	s_mov_b64 s[20:21], 0
.LBB17_389:
	s_andn2_b64 vcc, exec, s[20:21]
	s_cbranch_vccnz .LBB17_405
; %bb.390:
	v_mov_b32_e32 v1, 2
	v_cmp_lt_i16_sdwa s[24:25], v10, v1 src0_sel:BYTE_0 src1_sel:DWORD
	s_mov_b64 s[20:21], -1
	s_and_b64 vcc, exec, s[24:25]
	s_cbranch_vccnz .LBB17_400
; %bb.391:
	v_mov_b32_e32 v1, 3
	v_cmp_lt_i16_sdwa s[24:25], v10, v1 src0_sel:BYTE_0 src1_sel:DWORD
	s_and_b64 vcc, exec, s[24:25]
	s_cbranch_vccnz .LBB17_397
; %bb.392:
	v_cmp_gt_i16_sdwa s[24:25], v10, v1 src0_sel:BYTE_0 src1_sel:DWORD
	s_and_b64 vcc, exec, s[24:25]
	s_cbranch_vccz .LBB17_394
; %bb.393:
	v_trunc_f32_e32 v1, v0
	s_mov_b32 s20, 0x2f800000
	v_mul_f32_e64 v4, |v1|, s20
	v_floor_f32_e32 v4, v4
	s_mov_b32 s20, 0xcf800000
	v_cvt_u32_f32_e32 v5, v4
	v_fma_f32 v4, v4, s20, |v1|
	v_cvt_u32_f32_e32 v4, v4
	v_ashrrev_i32_e32 v1, 31, v1
	v_xor_b32_e32 v5, v5, v1
	s_mov_b64 s[20:21], 0
	v_xor_b32_e32 v4, v4, v1
	v_sub_co_u32_e32 v4, vcc, v4, v1
	v_subb_co_u32_e32 v5, vcc, v5, v1, vcc
	global_store_dwordx2 v[2:3], v[4:5], off
.LBB17_394:
	s_andn2_b64 vcc, exec, s[20:21]
	s_cbranch_vccnz .LBB17_396
; %bb.395:
	v_cvt_i32_f32_e32 v1, v0
	global_store_dword v[2:3], v1, off
.LBB17_396:
	s_mov_b64 s[20:21], 0
.LBB17_397:
	s_andn2_b64 vcc, exec, s[20:21]
	s_cbranch_vccnz .LBB17_399
; %bb.398:
	v_cvt_i32_f32_e32 v1, v0
	global_store_short v[2:3], v1, off
.LBB17_399:
	s_mov_b64 s[20:21], 0
.LBB17_400:
	s_andn2_b64 vcc, exec, s[20:21]
	s_cbranch_vccnz .LBB17_405
; %bb.401:
	v_mov_b32_e32 v1, 0
	v_cmp_gt_i16_sdwa s[24:25], v10, v1 src0_sel:BYTE_0 src1_sel:DWORD
	s_mov_b64 s[20:21], -1
	s_and_b64 vcc, exec, s[24:25]
	s_cbranch_vccz .LBB17_403
; %bb.402:
	v_cvt_i32_f32_e32 v1, v0
	s_mov_b64 s[20:21], 0
	global_store_byte v[2:3], v1, off
.LBB17_403:
	s_andn2_b64 vcc, exec, s[20:21]
	s_cbranch_vccnz .LBB17_405
; %bb.404:
	v_trunc_f32_e32 v0, v0
	s_mov_b32 s20, 0x2f800000
	v_mul_f32_e64 v1, |v0|, s20
	v_floor_f32_e32 v1, v1
	s_mov_b32 s20, 0xcf800000
	v_fma_f32 v1, v1, s20, |v0|
	v_cvt_u32_f32_e32 v1, v1
	v_ashrrev_i32_e32 v0, 31, v0
	v_xor_b32_e32 v1, v1, v0
	v_sub_u32_e32 v0, v1, v0
	global_store_byte v[2:3], v0, off
.LBB17_405:
	s_mov_b64 s[20:21], -1
.LBB17_406:
	s_andn2_b64 vcc, exec, s[20:21]
	s_cbranch_vccnz .LBB17_408
; %bb.407:
	v_add_u32_e32 v8, 0x80, v8
	s_mov_b64 s[24:25], -1
	s_branch .LBB17_520
.LBB17_408:
	s_mov_b64 s[24:25], 0
                                        ; implicit-def: $vgpr8
	s_branch .LBB17_520
.LBB17_409:
	s_mov_b64 s[18:19], -1
                                        ; implicit-def: $vgpr2
.LBB17_410:
	s_mov_b64 s[20:21], 0
.LBB17_411:
	s_and_b64 vcc, exec, s[20:21]
	s_cbranch_vccz .LBB17_415
; %bb.412:
	v_cmp_eq_u16_e32 vcc, 29, v9
	s_cbranch_vccz .LBB17_414
; %bb.413:
	global_load_dwordx2 v[2:3], v[0:1], off
	s_mov_b64 s[0:1], -1
	s_mov_b64 s[18:19], 0
	s_mov_b64 s[20:21], 0
	s_waitcnt vmcnt(0)
	v_ffbh_u32_e32 v4, v3
	v_min_u32_e32 v4, 32, v4
	v_lshlrev_b64 v[2:3], v4, v[2:3]
	v_min_u32_e32 v2, 1, v2
	v_or_b32_e32 v2, v3, v2
	v_cvt_f32_u32_e32 v2, v2
	v_sub_u32_e32 v3, 32, v4
	v_ldexp_f32 v2, v2, v3
	s_branch .LBB17_416
.LBB17_414:
	s_mov_b64 s[18:19], -1
                                        ; implicit-def: $vgpr2
.LBB17_415:
	s_mov_b64 s[20:21], 0
.LBB17_416:
	s_and_b64 vcc, exec, s[20:21]
	s_cbranch_vccz .LBB17_434
; %bb.417:
	v_cmp_gt_i16_e32 vcc, 27, v9
	s_cbranch_vccnz .LBB17_420
; %bb.418:
	v_cmp_lt_i16_e32 vcc, 27, v9
	s_cbranch_vccz .LBB17_421
; %bb.419:
	global_load_dword v2, v[0:1], off
	s_mov_b64 s[0:1], 0
	s_waitcnt vmcnt(0)
	v_cvt_f32_u32_e32 v2, v2
	s_branch .LBB17_422
.LBB17_420:
	s_mov_b64 s[0:1], -1
                                        ; implicit-def: $vgpr2
	s_branch .LBB17_425
.LBB17_421:
	s_mov_b64 s[0:1], -1
                                        ; implicit-def: $vgpr2
.LBB17_422:
	s_andn2_b64 vcc, exec, s[0:1]
	s_cbranch_vccnz .LBB17_424
; %bb.423:
	global_load_ushort v2, v[0:1], off
	s_waitcnt vmcnt(0)
	v_cvt_f32_u32_e32 v2, v2
.LBB17_424:
	s_mov_b64 s[0:1], 0
.LBB17_425:
	s_andn2_b64 vcc, exec, s[0:1]
	s_cbranch_vccnz .LBB17_433
; %bb.426:
	global_load_ubyte v3, v[0:1], off
	s_movk_i32 s0, 0x7f
                                        ; implicit-def: $sgpr26
	s_waitcnt vmcnt(0)
	v_cmp_lt_i16_e32 vcc, s0, v3
	s_mov_b64 s[0:1], 0
	s_and_saveexec_b64 s[20:21], vcc
	s_xor_b64 s[20:21], exec, s[20:21]
	s_cbranch_execz .LBB17_447
; %bb.427:
	s_movk_i32 s0, 0x80
	v_cmp_eq_u16_e32 vcc, s0, v3
	s_mov_b64 s[0:1], -1
                                        ; implicit-def: $sgpr26
	s_and_saveexec_b64 s[24:25], vcc
; %bb.428:
	s_mov_b32 s26, 0x7f800001
	s_xor_b64 s[0:1], exec, -1
; %bb.429:
	s_or_b64 exec, exec, s[24:25]
	s_and_b64 s[0:1], s[0:1], exec
	s_or_saveexec_b64 s[20:21], s[20:21]
	v_mov_b32_e32 v2, s26
	s_xor_b64 exec, exec, s[20:21]
	s_cbranch_execnz .LBB17_448
.LBB17_430:
	s_or_b64 exec, exec, s[20:21]
	s_and_saveexec_b64 s[20:21], s[0:1]
	s_cbranch_execz .LBB17_432
.LBB17_431:
	v_lshlrev_b32_e32 v2, 24, v3
	v_and_b32_e32 v3, 0xffff, v3
	v_and_b32_e32 v4, 7, v3
	v_ffbh_u32_e32 v6, v4
	v_min_u32_e32 v6, 32, v6
	v_subrev_u32_e32 v7, 28, v6
	v_bfe_u32 v5, v3, 3, 4
	v_lshlrev_b32_e32 v3, v7, v3
	v_sub_u32_e32 v6, 29, v6
	v_and_b32_e32 v3, 7, v3
	v_cmp_eq_u32_e32 vcc, 0, v5
	v_cndmask_b32_e32 v5, v5, v6, vcc
	v_cndmask_b32_e32 v3, v4, v3, vcc
	v_mov_b32_e32 v4, 0x3b800000
	v_lshlrev_b32_e32 v3, 20, v3
	v_and_b32_e32 v2, 0x80000000, v2
	v_lshl_add_u32 v4, v5, 23, v4
	v_or3_b32 v2, v2, v4, v3
.LBB17_432:
	s_or_b64 exec, exec, s[20:21]
.LBB17_433:
	s_mov_b64 s[0:1], -1
.LBB17_434:
	s_mov_b64 s[20:21], 0
.LBB17_435:
	s_and_b64 vcc, exec, s[20:21]
	s_cbranch_vccz .LBB17_470
; %bb.436:
	v_cmp_lt_i16_e32 vcc, 22, v9
	s_cbranch_vccz .LBB17_446
; %bb.437:
	v_cmp_gt_i16_e32 vcc, 24, v9
	s_cbranch_vccnz .LBB17_449
; %bb.438:
	v_cmp_lt_i16_e32 vcc, 24, v9
	s_cbranch_vccz .LBB17_450
; %bb.439:
	global_load_ubyte v3, v[0:1], off
	s_movk_i32 s0, 0x7f
                                        ; implicit-def: $sgpr26
	s_waitcnt vmcnt(0)
	v_cmp_lt_i16_e32 vcc, s0, v3
	s_mov_b64 s[0:1], 0
	s_and_saveexec_b64 s[20:21], vcc
	s_xor_b64 s[20:21], exec, s[20:21]
	s_cbranch_execz .LBB17_462
; %bb.440:
	s_movk_i32 s0, 0x80
	v_cmp_eq_u16_e32 vcc, s0, v3
	s_mov_b64 s[0:1], -1
                                        ; implicit-def: $sgpr26
	s_and_saveexec_b64 s[24:25], vcc
; %bb.441:
	s_mov_b32 s26, 0x7f800001
	s_xor_b64 s[0:1], exec, -1
; %bb.442:
	s_or_b64 exec, exec, s[24:25]
	s_and_b64 s[0:1], s[0:1], exec
	s_or_saveexec_b64 s[20:21], s[20:21]
	v_mov_b32_e32 v2, s26
	s_xor_b64 exec, exec, s[20:21]
	s_cbranch_execnz .LBB17_463
.LBB17_443:
	s_or_b64 exec, exec, s[20:21]
	s_and_saveexec_b64 s[20:21], s[0:1]
	s_cbranch_execz .LBB17_445
.LBB17_444:
	v_lshlrev_b32_e32 v2, 24, v3
	v_and_b32_e32 v3, 0xffff, v3
	v_and_b32_e32 v4, 3, v3
	v_ffbh_u32_e32 v6, v4
	v_min_u32_e32 v6, 32, v6
	v_subrev_u32_e32 v7, 29, v6
	v_bfe_u32 v5, v3, 2, 5
	v_lshlrev_b32_e32 v3, v7, v3
	v_sub_u32_e32 v6, 30, v6
	v_and_b32_e32 v3, 3, v3
	v_cmp_eq_u32_e32 vcc, 0, v5
	v_cndmask_b32_e32 v5, v5, v6, vcc
	v_cndmask_b32_e32 v3, v4, v3, vcc
	v_mov_b32_e32 v4, 0x37800000
	v_lshlrev_b32_e32 v3, 21, v3
	v_and_b32_e32 v2, 0x80000000, v2
	v_lshl_add_u32 v4, v5, 23, v4
	v_or3_b32 v2, v2, v4, v3
.LBB17_445:
	s_or_b64 exec, exec, s[20:21]
	s_mov_b64 s[0:1], 0
	s_branch .LBB17_451
.LBB17_446:
	s_mov_b64 s[20:21], -1
                                        ; implicit-def: $vgpr2
	s_branch .LBB17_457
.LBB17_447:
	s_or_saveexec_b64 s[20:21], s[20:21]
	v_mov_b32_e32 v2, s26
	s_xor_b64 exec, exec, s[20:21]
	s_cbranch_execz .LBB17_430
.LBB17_448:
	v_cmp_ne_u16_e32 vcc, 0, v3
	s_andn2_b64 s[0:1], s[0:1], exec
	s_and_b64 s[24:25], vcc, exec
	v_mov_b32_e32 v2, 0
	s_or_b64 s[0:1], s[0:1], s[24:25]
	s_or_b64 exec, exec, s[20:21]
	s_and_saveexec_b64 s[20:21], s[0:1]
	s_cbranch_execnz .LBB17_431
	s_branch .LBB17_432
.LBB17_449:
	s_mov_b64 s[0:1], -1
                                        ; implicit-def: $vgpr2
	s_branch .LBB17_454
.LBB17_450:
	s_mov_b64 s[0:1], -1
                                        ; implicit-def: $vgpr2
.LBB17_451:
	s_and_b64 vcc, exec, s[0:1]
	s_cbranch_vccz .LBB17_453
; %bb.452:
	global_load_ubyte v2, v[0:1], off
	s_mov_b32 s0, 0x7f800000
	s_waitcnt vmcnt(0)
	v_lshlrev_b32_e32 v2, 24, v2
	v_and_b32_e32 v3, 0x7f000000, v2
	v_ffbh_u32_e32 v4, v3
	v_min_u32_e32 v4, 32, v4
	v_sub_u32_e64 v4, v4, 4 clamp
	v_lshlrev_b32_e32 v6, v4, v3
	v_lshlrev_b32_e32 v4, 23, v4
	v_lshrrev_b32_e32 v6, 4, v6
	v_add_u32_e32 v5, 0x1000000, v3
	v_sub_u32_e32 v4, v6, v4
	v_ashrrev_i32_e32 v5, 8, v5
	v_add_u32_e32 v4, 0x3c000000, v4
	v_and_or_b32 v4, v5, s0, v4
	v_cmp_ne_u32_e32 vcc, 0, v3
	v_cndmask_b32_e32 v3, 0, v4, vcc
	s_brev_b32 s0, 1
	v_and_or_b32 v2, v2, s0, v3
.LBB17_453:
	s_mov_b64 s[0:1], 0
.LBB17_454:
	s_andn2_b64 vcc, exec, s[0:1]
	s_cbranch_vccnz .LBB17_456
; %bb.455:
	global_load_ubyte v2, v[0:1], off
	s_movk_i32 s0, 0x7f00
	s_brev_b32 s1, 16
	s_waitcnt vmcnt(0)
	v_lshlrev_b16_e32 v3, 8, v2
	v_lshlrev_b32_e32 v2, 25, v2
	v_lshrrev_b32_e32 v4, 4, v2
	v_and_or_b32 v5, v3, s0, 0.5
	v_or_b32_e32 v4, 0x70000000, v4
	v_add_f32_e32 v5, -0.5, v5
	v_mul_f32_e32 v4, 0x7800000, v4
	v_cmp_gt_u32_e32 vcc, s1, v2
	v_bfe_i32 v3, v3, 0, 16
	v_cndmask_b32_e32 v2, v4, v5, vcc
	s_brev_b32 s0, 1
	v_and_or_b32 v2, v3, s0, v2
.LBB17_456:
	s_mov_b64 s[20:21], 0
	s_mov_b64 s[0:1], -1
.LBB17_457:
	s_andn2_b64 vcc, exec, s[20:21]
	s_cbranch_vccnz .LBB17_470
; %bb.458:
	v_cmp_lt_i16_e32 vcc, 14, v9
	s_cbranch_vccz .LBB17_461
; %bb.459:
	v_cmp_eq_u16_e32 vcc, 15, v9
	s_cbranch_vccz .LBB17_464
; %bb.460:
	global_load_ushort v2, v[0:1], off
	s_mov_b64 s[0:1], -1
	s_mov_b64 s[18:19], 0
	s_waitcnt vmcnt(0)
	v_lshlrev_b32_e32 v2, 16, v2
	s_branch .LBB17_465
.LBB17_461:
	s_mov_b64 s[20:21], -1
                                        ; implicit-def: $vgpr2
	s_branch .LBB17_466
.LBB17_462:
	s_or_saveexec_b64 s[20:21], s[20:21]
	v_mov_b32_e32 v2, s26
	s_xor_b64 exec, exec, s[20:21]
	s_cbranch_execz .LBB17_443
.LBB17_463:
	v_cmp_ne_u16_e32 vcc, 0, v3
	s_andn2_b64 s[0:1], s[0:1], exec
	s_and_b64 s[24:25], vcc, exec
	v_mov_b32_e32 v2, 0
	s_or_b64 s[0:1], s[0:1], s[24:25]
	s_or_b64 exec, exec, s[20:21]
	s_and_saveexec_b64 s[20:21], s[0:1]
	s_cbranch_execnz .LBB17_444
	s_branch .LBB17_445
.LBB17_464:
	s_mov_b64 s[18:19], -1
                                        ; implicit-def: $vgpr2
.LBB17_465:
	s_mov_b64 s[20:21], 0
.LBB17_466:
	s_and_b64 vcc, exec, s[20:21]
	s_cbranch_vccz .LBB17_470
; %bb.467:
	v_cmp_eq_u16_e32 vcc, 11, v9
	s_cbranch_vccz .LBB17_469
; %bb.468:
	global_load_ubyte v2, v[0:1], off
	s_mov_b64 s[0:1], -1
	s_mov_b64 s[18:19], 0
	s_waitcnt vmcnt(0)
	v_cmp_ne_u16_e32 vcc, 0, v2
	v_cndmask_b32_e64 v2, 0, 1.0, vcc
	s_branch .LBB17_470
.LBB17_469:
	s_mov_b64 s[18:19], -1
                                        ; implicit-def: $vgpr2
.LBB17_470:
	s_branch .LBB17_269
.LBB17_471:
	v_cmp_gt_i16_e32 vcc, 5, v9
	s_cbranch_vccnz .LBB17_476
; %bb.472:
	v_cmp_gt_i16_e32 vcc, 8, v9
	s_cbranch_vccnz .LBB17_477
; %bb.473:
	;; [unrolled: 3-line block ×3, first 2 shown]
	v_cmp_lt_i16_e32 vcc, 9, v9
	s_cbranch_vccz .LBB17_479
; %bb.475:
	global_load_dwordx2 v[2:3], v[0:1], off
	s_mov_b64 s[0:1], 0
	s_waitcnt vmcnt(0)
	v_cvt_f32_f64_e32 v2, v[2:3]
	s_branch .LBB17_480
.LBB17_476:
	s_mov_b64 s[0:1], -1
                                        ; implicit-def: $vgpr2
	s_branch .LBB17_498
.LBB17_477:
	s_mov_b64 s[0:1], -1
                                        ; implicit-def: $vgpr2
	s_branch .LBB17_486
.LBB17_478:
	s_mov_b64 s[0:1], -1
                                        ; implicit-def: $vgpr2
	s_branch .LBB17_483
.LBB17_479:
	s_mov_b64 s[0:1], -1
                                        ; implicit-def: $vgpr2
.LBB17_480:
	s_andn2_b64 vcc, exec, s[0:1]
	s_cbranch_vccnz .LBB17_482
; %bb.481:
	global_load_dword v2, v[0:1], off
.LBB17_482:
	s_mov_b64 s[0:1], 0
.LBB17_483:
	s_andn2_b64 vcc, exec, s[0:1]
	s_cbranch_vccnz .LBB17_485
; %bb.484:
	global_load_dword v2, v[0:1], off
	s_waitcnt vmcnt(0)
	v_cvt_f32_f16_e32 v2, v2
.LBB17_485:
	s_mov_b64 s[0:1], 0
.LBB17_486:
	s_andn2_b64 vcc, exec, s[0:1]
	s_cbranch_vccnz .LBB17_497
; %bb.487:
	v_cmp_gt_i16_e32 vcc, 6, v9
	s_cbranch_vccnz .LBB17_490
; %bb.488:
	v_cmp_lt_i16_e32 vcc, 6, v9
	s_cbranch_vccz .LBB17_491
; %bb.489:
	global_load_dwordx2 v[2:3], v[0:1], off
	s_mov_b64 s[0:1], 0
	s_waitcnt vmcnt(0)
	v_cvt_f32_f64_e32 v2, v[2:3]
	s_branch .LBB17_492
.LBB17_490:
	s_mov_b64 s[0:1], -1
                                        ; implicit-def: $vgpr2
	s_branch .LBB17_495
.LBB17_491:
	s_mov_b64 s[0:1], -1
                                        ; implicit-def: $vgpr2
.LBB17_492:
	s_andn2_b64 vcc, exec, s[0:1]
	s_cbranch_vccnz .LBB17_494
; %bb.493:
	global_load_dword v2, v[0:1], off
.LBB17_494:
	s_mov_b64 s[0:1], 0
.LBB17_495:
	s_andn2_b64 vcc, exec, s[0:1]
	s_cbranch_vccnz .LBB17_497
; %bb.496:
	global_load_ushort v2, v[0:1], off
	s_waitcnt vmcnt(0)
	v_cvt_f32_f16_e32 v2, v2
.LBB17_497:
	s_mov_b64 s[0:1], 0
.LBB17_498:
	s_andn2_b64 vcc, exec, s[0:1]
	s_cbranch_vccnz .LBB17_518
; %bb.499:
	v_cmp_gt_i16_e32 vcc, 2, v9
	s_cbranch_vccnz .LBB17_503
; %bb.500:
	v_cmp_gt_i16_e32 vcc, 3, v9
	s_cbranch_vccnz .LBB17_504
; %bb.501:
	v_cmp_lt_i16_e32 vcc, 3, v9
	s_cbranch_vccz .LBB17_505
; %bb.502:
	global_load_dwordx2 v[2:3], v[0:1], off
	s_mov_b64 s[0:1], 0
	s_waitcnt vmcnt(0)
	v_xor_b32_e32 v5, v2, v3
	v_ffbh_i32_e32 v4, v3
	v_ashrrev_i32_e32 v5, 31, v5
	v_add_u32_e32 v4, -1, v4
	v_add_u32_e32 v5, 32, v5
	v_min_u32_e32 v4, v4, v5
	v_lshlrev_b64 v[2:3], v4, v[2:3]
	v_min_u32_e32 v2, 1, v2
	v_or_b32_e32 v2, v3, v2
	v_cvt_f32_i32_e32 v2, v2
	v_sub_u32_e32 v3, 32, v4
	v_ldexp_f32 v2, v2, v3
	s_branch .LBB17_506
.LBB17_503:
	s_mov_b64 s[0:1], -1
                                        ; implicit-def: $vgpr2
	s_branch .LBB17_512
.LBB17_504:
	s_mov_b64 s[0:1], -1
                                        ; implicit-def: $vgpr2
	s_branch .LBB17_509
.LBB17_505:
	s_mov_b64 s[0:1], -1
                                        ; implicit-def: $vgpr2
.LBB17_506:
	s_andn2_b64 vcc, exec, s[0:1]
	s_cbranch_vccnz .LBB17_508
; %bb.507:
	global_load_dword v2, v[0:1], off
	s_waitcnt vmcnt(0)
	v_cvt_f32_i32_e32 v2, v2
.LBB17_508:
	s_mov_b64 s[0:1], 0
.LBB17_509:
	s_andn2_b64 vcc, exec, s[0:1]
	s_cbranch_vccnz .LBB17_511
; %bb.510:
	global_load_sshort v2, v[0:1], off
	s_waitcnt vmcnt(0)
	v_cvt_f32_i32_e32 v2, v2
.LBB17_511:
	s_mov_b64 s[0:1], 0
.LBB17_512:
	s_andn2_b64 vcc, exec, s[0:1]
	s_cbranch_vccnz .LBB17_518
; %bb.513:
	v_cmp_lt_i16_e32 vcc, 0, v9
	s_cbranch_vccz .LBB17_515
; %bb.514:
	global_load_sbyte v2, v[0:1], off
	s_mov_b64 s[0:1], 0
	s_waitcnt vmcnt(0)
	v_cvt_f32_i32_e32 v2, v2
	s_branch .LBB17_516
.LBB17_515:
	s_mov_b64 s[0:1], -1
                                        ; implicit-def: $vgpr2
.LBB17_516:
	s_andn2_b64 vcc, exec, s[0:1]
	s_cbranch_vccnz .LBB17_518
; %bb.517:
	global_load_ubyte v0, v[0:1], off
	s_waitcnt vmcnt(0)
	v_cvt_f32_ubyte0_e32 v2, v0
.LBB17_518:
	s_branch .LBB17_270
.LBB17_519:
	s_mov_b64 s[24:25], 0
                                        ; implicit-def: $vgpr8
	s_mov_b64 s[0:1], s[6:7]
.LBB17_520:
	s_andn2_b64 s[20:21], s[6:7], exec
	s_and_b64 s[0:1], s[0:1], exec
	s_or_b64 s[20:21], s[20:21], s[0:1]
	s_andn2_b64 s[0:1], s[14:15], exec
	s_and_b64 s[18:19], s[18:19], exec
	s_or_b64 s[18:19], s[0:1], s[18:19]
	s_orn2_b64 s[0:1], s[24:25], exec
.LBB17_521:
	s_or_b64 exec, exec, s[22:23]
	s_mov_b64 s[24:25], 0
	s_mov_b64 s[26:27], 0
	;; [unrolled: 1-line block ×3, first 2 shown]
                                        ; implicit-def: $vgpr0_vgpr1
                                        ; implicit-def: $vgpr5
	s_and_saveexec_b64 s[22:23], s[0:1]
	s_cbranch_execz .LBB17_870
; %bb.522:
	v_cmp_gt_i32_e32 vcc, s33, v8
	s_mov_b64 s[34:35], -1
	s_mov_b64 s[0:1], s[18:19]
	s_mov_b64 s[28:29], s[20:21]
	s_and_saveexec_b64 s[24:25], vcc
	s_cbranch_execz .LBB17_784
; %bb.523:
	v_mul_lo_u32 v0, v8, s13
	v_ashrrev_i32_e32 v1, 31, v0
	s_waitcnt vmcnt(0)
	v_mov_b32_e32 v2, s11
	v_add_co_u32_e32 v0, vcc, s10, v0
	v_addc_co_u32_e32 v1, vcc, v2, v1, vcc
	v_cmp_gt_i16_e32 vcc, 11, v9
	s_cbranch_vccnz .LBB17_530
; %bb.524:
	v_cmp_lt_i16_e32 vcc, 25, v9
	s_cbranch_vccz .LBB17_531
; %bb.525:
	v_cmp_lt_i16_e32 vcc, 28, v9
	s_cbranch_vccz .LBB17_532
	;; [unrolled: 3-line block ×4, first 2 shown]
; %bb.528:
	v_cmp_eq_u16_e32 vcc, 46, v9
	s_mov_b64 s[28:29], 0
	s_cbranch_vccz .LBB17_539
; %bb.529:
	global_load_dword v2, v[0:1], off
	s_mov_b64 s[0:1], -1
	s_waitcnt vmcnt(0)
	v_lshlrev_b32_e32 v2, 16, v2
	s_branch .LBB17_540
.LBB17_530:
	s_mov_b64 s[28:29], -1
	s_mov_b64 s[0:1], 0
                                        ; implicit-def: $vgpr2
	s_mov_b64 s[26:27], s[18:19]
	s_branch .LBB17_605
.LBB17_531:
	s_mov_b64 s[28:29], -1
	s_mov_b64 s[0:1], 0
	s_mov_b64 s[26:27], s[18:19]
                                        ; implicit-def: $vgpr2
	s_branch .LBB17_569
.LBB17_532:
	s_mov_b64 s[28:29], -1
	s_mov_b64 s[0:1], 0
	s_mov_b64 s[26:27], s[18:19]
                                        ; implicit-def: $vgpr2
	s_branch .LBB17_550
.LBB17_533:
	s_mov_b64 s[28:29], -1
	s_mov_b64 s[0:1], 0
	s_mov_b64 s[26:27], s[18:19]
                                        ; implicit-def: $vgpr2
	s_branch .LBB17_545
.LBB17_534:
	s_or_saveexec_b64 s[26:27], s[26:27]
                                        ; implicit-def: $sgpr28
	s_xor_b64 exec, exec, s[26:27]
	s_cbranch_execz .LBB17_319
.LBB17_535:
	s_mov_b32 s28, 0x46000000
	v_add_f32_e64 v1, |v0|, s28
	v_and_b32_e32 v1, 0xff, v1
	v_cmp_ne_u32_e32 vcc, 0, v1
	s_andn2_b64 s[24:25], s[24:25], exec
	s_and_b64 s[30:31], vcc, exec
	s_mov_b32 s28, 0
	s_or_b64 s[24:25], s[24:25], s[30:31]
	s_or_b64 exec, exec, s[26:27]
	v_mov_b32_e32 v4, s28
	s_and_saveexec_b64 s[26:27], s[24:25]
	s_cbranch_execnz .LBB17_320
	s_branch .LBB17_321
.LBB17_536:
	s_mov_b64 s[28:29], -1
	s_mov_b64 s[0:1], 0
	s_mov_b64 s[26:27], s[18:19]
                                        ; implicit-def: $vgpr2
	s_branch .LBB17_540
.LBB17_537:
	s_or_saveexec_b64 s[26:27], s[26:27]
                                        ; implicit-def: $sgpr28
	s_xor_b64 exec, exec, s[26:27]
	s_cbranch_execz .LBB17_332
.LBB17_538:
	s_mov_b32 s28, 0x42800000
	v_add_f32_e64 v1, |v0|, s28
	v_and_b32_e32 v1, 0xff, v1
	v_cmp_ne_u32_e32 vcc, 0, v1
	s_andn2_b64 s[24:25], s[24:25], exec
	s_and_b64 s[30:31], vcc, exec
	s_mov_b32 s28, 0
	s_or_b64 s[24:25], s[24:25], s[30:31]
	s_or_b64 exec, exec, s[26:27]
	v_mov_b32_e32 v4, s28
	s_and_saveexec_b64 s[26:27], s[24:25]
	s_cbranch_execnz .LBB17_333
	s_branch .LBB17_334
.LBB17_539:
	s_mov_b64 s[26:27], -1
                                        ; implicit-def: $vgpr2
	s_mov_b64 s[0:1], 0
.LBB17_540:
	s_and_b64 vcc, exec, s[28:29]
	s_cbranch_vccz .LBB17_544
; %bb.541:
	v_cmp_eq_u16_e32 vcc, 44, v9
	s_cbranch_vccz .LBB17_543
; %bb.542:
	global_load_ubyte v2, v[0:1], off
	s_movk_i32 s26, 0xff
	v_mov_b32_e32 v3, 0x7f800001
	v_mov_b32_e32 v4, 0x400000
	s_mov_b64 s[0:1], -1
	s_waitcnt vmcnt(0)
	v_lshlrev_b32_e32 v5, 23, v2
	v_cmp_ne_u32_e32 vcc, s26, v2
	v_cndmask_b32_e32 v3, v3, v5, vcc
	v_cmp_ne_u32_e32 vcc, 0, v2
	v_cndmask_b32_e32 v2, v4, v3, vcc
	s_mov_b64 s[26:27], 0
	s_branch .LBB17_544
.LBB17_543:
	s_mov_b64 s[26:27], -1
                                        ; implicit-def: $vgpr2
.LBB17_544:
	s_mov_b64 s[28:29], 0
.LBB17_545:
	s_and_b64 vcc, exec, s[28:29]
	s_cbranch_vccz .LBB17_549
; %bb.546:
	v_cmp_eq_u16_e32 vcc, 29, v9
	s_cbranch_vccz .LBB17_548
; %bb.547:
	global_load_dwordx2 v[2:3], v[0:1], off
	s_mov_b64 s[0:1], -1
	s_mov_b64 s[26:27], 0
	s_mov_b64 s[28:29], 0
	s_waitcnt vmcnt(0)
	v_ffbh_u32_e32 v4, v3
	v_min_u32_e32 v4, 32, v4
	v_lshlrev_b64 v[2:3], v4, v[2:3]
	v_min_u32_e32 v2, 1, v2
	v_or_b32_e32 v2, v3, v2
	v_cvt_f32_u32_e32 v2, v2
	v_sub_u32_e32 v3, 32, v4
	v_ldexp_f32 v2, v2, v3
	s_branch .LBB17_550
.LBB17_548:
	s_mov_b64 s[26:27], -1
                                        ; implicit-def: $vgpr2
.LBB17_549:
	s_mov_b64 s[28:29], 0
.LBB17_550:
	s_and_b64 vcc, exec, s[28:29]
	s_cbranch_vccz .LBB17_568
; %bb.551:
	v_cmp_gt_i16_e32 vcc, 27, v9
	s_cbranch_vccnz .LBB17_554
; %bb.552:
	v_cmp_lt_i16_e32 vcc, 27, v9
	s_cbranch_vccz .LBB17_555
; %bb.553:
	global_load_dword v2, v[0:1], off
	s_mov_b64 s[0:1], 0
	s_waitcnt vmcnt(0)
	v_cvt_f32_u32_e32 v2, v2
	s_branch .LBB17_556
.LBB17_554:
	s_mov_b64 s[0:1], -1
                                        ; implicit-def: $vgpr2
	s_branch .LBB17_559
.LBB17_555:
	s_mov_b64 s[0:1], -1
                                        ; implicit-def: $vgpr2
.LBB17_556:
	s_andn2_b64 vcc, exec, s[0:1]
	s_cbranch_vccnz .LBB17_558
; %bb.557:
	global_load_ushort v2, v[0:1], off
	s_waitcnt vmcnt(0)
	v_cvt_f32_u32_e32 v2, v2
.LBB17_558:
	s_mov_b64 s[0:1], 0
.LBB17_559:
	s_andn2_b64 vcc, exec, s[0:1]
	s_cbranch_vccnz .LBB17_567
; %bb.560:
	global_load_ubyte v3, v[0:1], off
	s_movk_i32 s0, 0x7f
                                        ; implicit-def: $sgpr34
	s_waitcnt vmcnt(0)
	v_cmp_lt_i16_e32 vcc, s0, v3
	s_mov_b64 s[0:1], 0
	s_and_saveexec_b64 s[28:29], vcc
	s_xor_b64 s[28:29], exec, s[28:29]
	s_cbranch_execz .LBB17_581
; %bb.561:
	s_movk_i32 s0, 0x80
	v_cmp_eq_u16_e32 vcc, s0, v3
	s_mov_b64 s[0:1], -1
                                        ; implicit-def: $sgpr34
	s_and_saveexec_b64 s[30:31], vcc
; %bb.562:
	s_mov_b32 s34, 0x7f800001
	s_xor_b64 s[0:1], exec, -1
; %bb.563:
	s_or_b64 exec, exec, s[30:31]
	s_and_b64 s[0:1], s[0:1], exec
	s_or_saveexec_b64 s[28:29], s[28:29]
	v_mov_b32_e32 v2, s34
	s_xor_b64 exec, exec, s[28:29]
	s_cbranch_execnz .LBB17_582
.LBB17_564:
	s_or_b64 exec, exec, s[28:29]
	s_and_saveexec_b64 s[28:29], s[0:1]
	s_cbranch_execz .LBB17_566
.LBB17_565:
	v_lshlrev_b32_e32 v2, 24, v3
	v_and_b32_e32 v3, 0xffff, v3
	v_and_b32_e32 v4, 7, v3
	v_ffbh_u32_e32 v6, v4
	v_min_u32_e32 v6, 32, v6
	v_subrev_u32_e32 v7, 28, v6
	v_bfe_u32 v5, v3, 3, 4
	v_lshlrev_b32_e32 v3, v7, v3
	v_sub_u32_e32 v6, 29, v6
	v_and_b32_e32 v3, 7, v3
	v_cmp_eq_u32_e32 vcc, 0, v5
	v_cndmask_b32_e32 v5, v5, v6, vcc
	v_cndmask_b32_e32 v3, v4, v3, vcc
	v_mov_b32_e32 v4, 0x3b800000
	v_lshlrev_b32_e32 v3, 20, v3
	v_and_b32_e32 v2, 0x80000000, v2
	v_lshl_add_u32 v4, v5, 23, v4
	v_or3_b32 v2, v2, v4, v3
.LBB17_566:
	s_or_b64 exec, exec, s[28:29]
.LBB17_567:
	s_mov_b64 s[0:1], -1
.LBB17_568:
	s_mov_b64 s[28:29], 0
.LBB17_569:
	s_and_b64 vcc, exec, s[28:29]
	s_cbranch_vccz .LBB17_604
; %bb.570:
	v_cmp_lt_i16_e32 vcc, 22, v9
	s_cbranch_vccz .LBB17_580
; %bb.571:
	v_cmp_gt_i16_e32 vcc, 24, v9
	s_cbranch_vccnz .LBB17_583
; %bb.572:
	v_cmp_lt_i16_e32 vcc, 24, v9
	s_cbranch_vccz .LBB17_584
; %bb.573:
	global_load_ubyte v3, v[0:1], off
	s_movk_i32 s0, 0x7f
                                        ; implicit-def: $sgpr34
	s_waitcnt vmcnt(0)
	v_cmp_lt_i16_e32 vcc, s0, v3
	s_mov_b64 s[0:1], 0
	s_and_saveexec_b64 s[28:29], vcc
	s_xor_b64 s[28:29], exec, s[28:29]
	s_cbranch_execz .LBB17_596
; %bb.574:
	s_movk_i32 s0, 0x80
	v_cmp_eq_u16_e32 vcc, s0, v3
	s_mov_b64 s[0:1], -1
                                        ; implicit-def: $sgpr34
	s_and_saveexec_b64 s[30:31], vcc
; %bb.575:
	s_mov_b32 s34, 0x7f800001
	s_xor_b64 s[0:1], exec, -1
; %bb.576:
	s_or_b64 exec, exec, s[30:31]
	s_and_b64 s[0:1], s[0:1], exec
	s_or_saveexec_b64 s[28:29], s[28:29]
	v_mov_b32_e32 v2, s34
	s_xor_b64 exec, exec, s[28:29]
	s_cbranch_execnz .LBB17_597
.LBB17_577:
	s_or_b64 exec, exec, s[28:29]
	s_and_saveexec_b64 s[28:29], s[0:1]
	s_cbranch_execz .LBB17_579
.LBB17_578:
	v_lshlrev_b32_e32 v2, 24, v3
	v_and_b32_e32 v3, 0xffff, v3
	v_and_b32_e32 v4, 3, v3
	v_ffbh_u32_e32 v6, v4
	v_min_u32_e32 v6, 32, v6
	v_subrev_u32_e32 v7, 29, v6
	v_bfe_u32 v5, v3, 2, 5
	v_lshlrev_b32_e32 v3, v7, v3
	v_sub_u32_e32 v6, 30, v6
	v_and_b32_e32 v3, 3, v3
	v_cmp_eq_u32_e32 vcc, 0, v5
	v_cndmask_b32_e32 v5, v5, v6, vcc
	v_cndmask_b32_e32 v3, v4, v3, vcc
	v_mov_b32_e32 v4, 0x37800000
	v_lshlrev_b32_e32 v3, 21, v3
	v_and_b32_e32 v2, 0x80000000, v2
	v_lshl_add_u32 v4, v5, 23, v4
	v_or3_b32 v2, v2, v4, v3
.LBB17_579:
	s_or_b64 exec, exec, s[28:29]
	s_mov_b64 s[0:1], 0
	s_branch .LBB17_585
.LBB17_580:
	s_mov_b64 s[28:29], -1
                                        ; implicit-def: $vgpr2
	s_branch .LBB17_591
.LBB17_581:
	s_or_saveexec_b64 s[28:29], s[28:29]
	v_mov_b32_e32 v2, s34
	s_xor_b64 exec, exec, s[28:29]
	s_cbranch_execz .LBB17_564
.LBB17_582:
	v_cmp_ne_u16_e32 vcc, 0, v3
	s_andn2_b64 s[0:1], s[0:1], exec
	s_and_b64 s[30:31], vcc, exec
	v_mov_b32_e32 v2, 0
	s_or_b64 s[0:1], s[0:1], s[30:31]
	s_or_b64 exec, exec, s[28:29]
	s_and_saveexec_b64 s[28:29], s[0:1]
	s_cbranch_execnz .LBB17_565
	s_branch .LBB17_566
.LBB17_583:
	s_mov_b64 s[0:1], -1
                                        ; implicit-def: $vgpr2
	s_branch .LBB17_588
.LBB17_584:
	s_mov_b64 s[0:1], -1
                                        ; implicit-def: $vgpr2
.LBB17_585:
	s_and_b64 vcc, exec, s[0:1]
	s_cbranch_vccz .LBB17_587
; %bb.586:
	global_load_ubyte v2, v[0:1], off
	s_mov_b32 s0, 0x7f800000
	s_waitcnt vmcnt(0)
	v_lshlrev_b32_e32 v2, 24, v2
	v_and_b32_e32 v3, 0x7f000000, v2
	v_ffbh_u32_e32 v4, v3
	v_min_u32_e32 v4, 32, v4
	v_sub_u32_e64 v4, v4, 4 clamp
	v_lshlrev_b32_e32 v6, v4, v3
	v_lshlrev_b32_e32 v4, 23, v4
	v_lshrrev_b32_e32 v6, 4, v6
	v_add_u32_e32 v5, 0x1000000, v3
	v_sub_u32_e32 v4, v6, v4
	v_ashrrev_i32_e32 v5, 8, v5
	v_add_u32_e32 v4, 0x3c000000, v4
	v_and_or_b32 v4, v5, s0, v4
	v_cmp_ne_u32_e32 vcc, 0, v3
	v_cndmask_b32_e32 v3, 0, v4, vcc
	s_brev_b32 s0, 1
	v_and_or_b32 v2, v2, s0, v3
.LBB17_587:
	s_mov_b64 s[0:1], 0
.LBB17_588:
	s_andn2_b64 vcc, exec, s[0:1]
	s_cbranch_vccnz .LBB17_590
; %bb.589:
	global_load_ubyte v2, v[0:1], off
	s_movk_i32 s0, 0x7f00
	s_brev_b32 s1, 16
	s_waitcnt vmcnt(0)
	v_lshlrev_b16_e32 v3, 8, v2
	v_lshlrev_b32_e32 v2, 25, v2
	v_lshrrev_b32_e32 v4, 4, v2
	v_and_or_b32 v5, v3, s0, 0.5
	v_or_b32_e32 v4, 0x70000000, v4
	v_add_f32_e32 v5, -0.5, v5
	v_mul_f32_e32 v4, 0x7800000, v4
	v_cmp_gt_u32_e32 vcc, s1, v2
	v_bfe_i32 v3, v3, 0, 16
	v_cndmask_b32_e32 v2, v4, v5, vcc
	s_brev_b32 s0, 1
	v_and_or_b32 v2, v3, s0, v2
.LBB17_590:
	s_mov_b64 s[28:29], 0
	s_mov_b64 s[0:1], -1
.LBB17_591:
	s_andn2_b64 vcc, exec, s[28:29]
	s_cbranch_vccnz .LBB17_604
; %bb.592:
	v_cmp_lt_i16_e32 vcc, 14, v9
	s_cbranch_vccz .LBB17_595
; %bb.593:
	v_cmp_eq_u16_e32 vcc, 15, v9
	s_cbranch_vccz .LBB17_598
; %bb.594:
	global_load_ushort v2, v[0:1], off
	s_mov_b64 s[0:1], -1
	s_mov_b64 s[26:27], 0
	s_waitcnt vmcnt(0)
	v_lshlrev_b32_e32 v2, 16, v2
	s_branch .LBB17_599
.LBB17_595:
	s_mov_b64 s[28:29], -1
                                        ; implicit-def: $vgpr2
	s_branch .LBB17_600
.LBB17_596:
	s_or_saveexec_b64 s[28:29], s[28:29]
	v_mov_b32_e32 v2, s34
	s_xor_b64 exec, exec, s[28:29]
	s_cbranch_execz .LBB17_577
.LBB17_597:
	v_cmp_ne_u16_e32 vcc, 0, v3
	s_andn2_b64 s[0:1], s[0:1], exec
	s_and_b64 s[30:31], vcc, exec
	v_mov_b32_e32 v2, 0
	s_or_b64 s[0:1], s[0:1], s[30:31]
	s_or_b64 exec, exec, s[28:29]
	s_and_saveexec_b64 s[28:29], s[0:1]
	s_cbranch_execnz .LBB17_578
	s_branch .LBB17_579
.LBB17_598:
	s_mov_b64 s[26:27], -1
                                        ; implicit-def: $vgpr2
.LBB17_599:
	s_mov_b64 s[28:29], 0
.LBB17_600:
	s_and_b64 vcc, exec, s[28:29]
	s_cbranch_vccz .LBB17_604
; %bb.601:
	v_cmp_eq_u16_e32 vcc, 11, v9
	s_cbranch_vccz .LBB17_603
; %bb.602:
	global_load_ubyte v2, v[0:1], off
	s_mov_b64 s[0:1], -1
	s_mov_b64 s[26:27], 0
	s_waitcnt vmcnt(0)
	v_cmp_ne_u16_e32 vcc, 0, v2
	v_cndmask_b32_e64 v2, 0, 1.0, vcc
	s_branch .LBB17_604
.LBB17_603:
	s_mov_b64 s[26:27], -1
                                        ; implicit-def: $vgpr2
.LBB17_604:
	s_mov_b64 s[28:29], 0
.LBB17_605:
	s_and_b64 vcc, exec, s[28:29]
	s_cbranch_vccz .LBB17_654
; %bb.606:
	v_cmp_gt_i16_e32 vcc, 5, v9
	s_cbranch_vccnz .LBB17_611
; %bb.607:
	v_cmp_gt_i16_e32 vcc, 8, v9
	s_cbranch_vccnz .LBB17_612
; %bb.608:
	v_cmp_gt_i16_e32 vcc, 9, v9
	s_cbranch_vccnz .LBB17_613
; %bb.609:
	v_cmp_lt_i16_e32 vcc, 9, v9
	s_cbranch_vccz .LBB17_614
; %bb.610:
	global_load_dwordx2 v[2:3], v[0:1], off
	s_mov_b64 s[0:1], 0
	s_waitcnt vmcnt(0)
	v_cvt_f32_f64_e32 v2, v[2:3]
	s_branch .LBB17_615
.LBB17_611:
	s_mov_b64 s[0:1], -1
                                        ; implicit-def: $vgpr2
	s_branch .LBB17_633
.LBB17_612:
	s_mov_b64 s[0:1], -1
                                        ; implicit-def: $vgpr2
	s_branch .LBB17_621
.LBB17_613:
	s_mov_b64 s[0:1], -1
                                        ; implicit-def: $vgpr2
	s_branch .LBB17_618
.LBB17_614:
	s_mov_b64 s[0:1], -1
                                        ; implicit-def: $vgpr2
.LBB17_615:
	s_andn2_b64 vcc, exec, s[0:1]
	s_cbranch_vccnz .LBB17_617
; %bb.616:
	global_load_dword v2, v[0:1], off
.LBB17_617:
	s_mov_b64 s[0:1], 0
.LBB17_618:
	s_andn2_b64 vcc, exec, s[0:1]
	s_cbranch_vccnz .LBB17_620
; %bb.619:
	global_load_dword v2, v[0:1], off
	s_waitcnt vmcnt(0)
	v_cvt_f32_f16_e32 v2, v2
.LBB17_620:
	s_mov_b64 s[0:1], 0
.LBB17_621:
	s_andn2_b64 vcc, exec, s[0:1]
	s_cbranch_vccnz .LBB17_632
; %bb.622:
	v_cmp_gt_i16_e32 vcc, 6, v9
	s_cbranch_vccnz .LBB17_625
; %bb.623:
	v_cmp_lt_i16_e32 vcc, 6, v9
	s_cbranch_vccz .LBB17_626
; %bb.624:
	global_load_dwordx2 v[2:3], v[0:1], off
	s_mov_b64 s[0:1], 0
	s_waitcnt vmcnt(0)
	v_cvt_f32_f64_e32 v2, v[2:3]
	s_branch .LBB17_627
.LBB17_625:
	s_mov_b64 s[0:1], -1
                                        ; implicit-def: $vgpr2
	s_branch .LBB17_630
.LBB17_626:
	s_mov_b64 s[0:1], -1
                                        ; implicit-def: $vgpr2
.LBB17_627:
	s_andn2_b64 vcc, exec, s[0:1]
	s_cbranch_vccnz .LBB17_629
; %bb.628:
	global_load_dword v2, v[0:1], off
.LBB17_629:
	s_mov_b64 s[0:1], 0
.LBB17_630:
	s_andn2_b64 vcc, exec, s[0:1]
	s_cbranch_vccnz .LBB17_632
; %bb.631:
	global_load_ushort v2, v[0:1], off
	s_waitcnt vmcnt(0)
	v_cvt_f32_f16_e32 v2, v2
.LBB17_632:
	s_mov_b64 s[0:1], 0
.LBB17_633:
	s_andn2_b64 vcc, exec, s[0:1]
	s_cbranch_vccnz .LBB17_653
; %bb.634:
	v_cmp_gt_i16_e32 vcc, 2, v9
	s_cbranch_vccnz .LBB17_638
; %bb.635:
	v_cmp_gt_i16_e32 vcc, 3, v9
	s_cbranch_vccnz .LBB17_639
; %bb.636:
	v_cmp_lt_i16_e32 vcc, 3, v9
	s_cbranch_vccz .LBB17_640
; %bb.637:
	global_load_dwordx2 v[2:3], v[0:1], off
	s_mov_b64 s[0:1], 0
	s_waitcnt vmcnt(0)
	v_xor_b32_e32 v5, v2, v3
	v_ffbh_i32_e32 v4, v3
	v_ashrrev_i32_e32 v5, 31, v5
	v_add_u32_e32 v4, -1, v4
	v_add_u32_e32 v5, 32, v5
	v_min_u32_e32 v4, v4, v5
	v_lshlrev_b64 v[2:3], v4, v[2:3]
	v_min_u32_e32 v2, 1, v2
	v_or_b32_e32 v2, v3, v2
	v_cvt_f32_i32_e32 v2, v2
	v_sub_u32_e32 v3, 32, v4
	v_ldexp_f32 v2, v2, v3
	s_branch .LBB17_641
.LBB17_638:
	s_mov_b64 s[0:1], -1
                                        ; implicit-def: $vgpr2
	s_branch .LBB17_647
.LBB17_639:
	s_mov_b64 s[0:1], -1
                                        ; implicit-def: $vgpr2
	s_branch .LBB17_644
.LBB17_640:
	s_mov_b64 s[0:1], -1
                                        ; implicit-def: $vgpr2
.LBB17_641:
	s_andn2_b64 vcc, exec, s[0:1]
	s_cbranch_vccnz .LBB17_643
; %bb.642:
	global_load_dword v2, v[0:1], off
	s_waitcnt vmcnt(0)
	v_cvt_f32_i32_e32 v2, v2
.LBB17_643:
	s_mov_b64 s[0:1], 0
.LBB17_644:
	s_andn2_b64 vcc, exec, s[0:1]
	s_cbranch_vccnz .LBB17_646
; %bb.645:
	global_load_sshort v2, v[0:1], off
	s_waitcnt vmcnt(0)
	v_cvt_f32_i32_e32 v2, v2
.LBB17_646:
	s_mov_b64 s[0:1], 0
.LBB17_647:
	s_andn2_b64 vcc, exec, s[0:1]
	s_cbranch_vccnz .LBB17_653
; %bb.648:
	v_cmp_lt_i16_e32 vcc, 0, v9
	s_cbranch_vccz .LBB17_650
; %bb.649:
	global_load_sbyte v2, v[0:1], off
	s_mov_b64 s[0:1], 0
	s_waitcnt vmcnt(0)
	v_cvt_f32_i32_e32 v2, v2
	s_branch .LBB17_651
.LBB17_650:
	s_mov_b64 s[0:1], -1
                                        ; implicit-def: $vgpr2
.LBB17_651:
	s_andn2_b64 vcc, exec, s[0:1]
	s_cbranch_vccnz .LBB17_653
; %bb.652:
	global_load_ubyte v0, v[0:1], off
	s_waitcnt vmcnt(0)
	v_cvt_f32_ubyte0_e32 v2, v0
.LBB17_653:
	s_mov_b64 s[0:1], -1
.LBB17_654:
	s_andn2_b64 vcc, exec, s[0:1]
	s_cbranch_vccnz .LBB17_666
; %bb.655:
	s_mov_b32 s0, 0x41000000
	s_waitcnt vmcnt(0)
	v_cmp_le_f32_e64 s[0:1], |v2|, s0
                                        ; implicit-def: $vgpr0
	s_and_saveexec_b64 s[28:29], s[0:1]
	s_xor_b64 s[0:1], exec, s[28:29]
	s_cbranch_execz .LBB17_657
; %bb.656:
	v_fma_f32 v0, |v2|, 0.5, -2.0
	v_mov_b32_e32 v1, 0x24199b15
	v_fmac_f32_e32 v1, 0xa2a2e5b9, v0
	v_mov_b32_e32 v3, 0x22a2e5b9
	v_fmac_f32_e32 v3, v0, v1
	v_add_f32_e32 v3, 0xa58c275c, v3
	v_fma_f32 v1, v0, v3, -v1
	v_add_f32_e32 v1, 0x26f736c5, v1
	v_fma_f32 v3, v0, v1, -v3
	;; [unrolled: 2-line block ×22, first 2 shown]
	v_add_f32_e32 v3, 0xbcc274f8, v3
	s_mov_b32 s28, 0x3fb8aa3b
	v_fma_f32 v1, v0, v3, -v1
	v_mul_f32_e64 v4, |v2|, s28
	v_add_f32_e32 v1, 0x3d49f456, v1
	v_rndne_f32_e32 v5, v4
	v_fma_f32 v3, v0, v1, -v3
	v_sub_f32_e32 v6, v4, v5
	v_fma_f32 v4, |v2|, s28, -v4
	s_mov_b32 s28, 0x32a5705f
	v_add_f32_e32 v3, 0xbdc25b82, v3
	v_fma_f32 v4, |v2|, s28, v4
	v_fma_f32 v1, v0, v3, -v1
	v_add_f32_e32 v4, v6, v4
	v_add_f32_e32 v1, 0x3e2fbd64, v1
	v_exp_f32_e32 v4, v4
	v_cvt_i32_f32_e32 v5, v5
	v_fma_f32 v3, v0, v1, -v3
	v_add_f32_e32 v3, 0xbe9bff5e, v3
	v_fma_f32 v0, v0, v3, -v1
	s_mov_b32 s28, 0xc2ce8ed0
	v_add_f32_e32 v0, 0x3f2d4275, v0
	v_ldexp_f32 v3, v4, v5
	v_cmp_nlt_f32_e64 vcc, |v2|, s28
	s_mov_b32 s28, 0x42b17218
	v_cndmask_b32_e32 v3, 0, v3, vcc
	v_mov_b32_e32 v4, 0x7f800000
	v_cmp_ngt_f32_e64 vcc, |v2|, s28
	v_sub_f32_e32 v0, v0, v1
	v_cndmask_b32_e32 v2, v4, v3, vcc
	v_mul_f32_e32 v0, 0.5, v0
	v_mul_f32_e32 v0, v2, v0
                                        ; implicit-def: $vgpr2
.LBB17_657:
	s_andn2_saveexec_b64 s[28:29], s[0:1]
	s_cbranch_execz .LBB17_659
; %bb.658:
	v_and_b32_e32 v0, 0x7fffffff, v2
	s_mov_b32 s30, 0x42000000
	v_div_scale_f32 v1, s[0:1], v0, v0, s30
	v_rcp_f32_e32 v3, v1
	v_div_scale_f32 v0, vcc, s30, v0, s30
	s_mov_b32 s0, 0x3fb8aa3b
	v_fma_f32 v4, -v1, v3, 1.0
	v_fmac_f32_e32 v3, v4, v3
	v_mul_f32_e32 v4, v0, v3
	v_fma_f32 v5, -v1, v4, v0
	v_fmac_f32_e32 v4, v5, v3
	v_fma_f32 v0, -v1, v4, v0
	v_div_fmas_f32 v0, v0, v3, v4
	v_div_fixup_f32 v0, v0, |v2|, s30
	v_add_f32_e32 v0, -2.0, v0
	v_mov_b32_e32 v1, 0xa2b236d3
	v_fmac_f32_e32 v1, 0xa3056dbb, v0
	v_mov_b32_e32 v3, 0x23056dbb
	v_fmac_f32_e32 v3, v0, v1
	v_add_f32_e32 v3, 0x244df0c1, v3
	v_fma_f32 v1, v0, v3, -v1
	v_add_f32_e32 v1, 0x241f9ee8, v1
	v_fma_f32 v3, v0, v1, -v3
	;; [unrolled: 2-line block ×17, first 2 shown]
	v_add_f32_e32 v1, 0x32c2b494, v1
	v_mul_f32_e64 v4, |v2|, s0
	v_fma_f32 v3, v0, v1, -v3
	v_rndne_f32_e32 v5, v4
	v_add_f32_e32 v3, 0x345c003f, v3
	v_sub_f32_e32 v6, v4, v5
	v_fma_f32 v4, |v2|, s0, -v4
	s_mov_b32 s0, 0x32a5705f
	v_fma_f32 v1, v0, v3, -v1
	v_fma_f32 v4, |v2|, s0, v4
	v_add_f32_e32 v1, 0x3642095e, v1
	v_add_f32_e32 v4, v6, v4
	v_fma_f32 v3, v0, v1, -v3
	v_exp_f32_e32 v4, v4
	v_cvt_i32_f32_e32 v5, v5
	v_add_f32_e32 v3, 0x38907d1c, v3
	v_fma_f32 v1, v0, v3, -v1
	v_add_f32_e32 v1, 0x3b5ccc65, v1
	s_mov_b32 s0, 0xc2ce8ed0
	v_fma_f32 v0, v0, v1, -v3
	v_ldexp_f32 v1, v4, v5
	v_cmp_nlt_f32_e64 vcc, |v2|, s0
	s_mov_b32 s0, 0x42b17218
	v_cndmask_b32_e32 v1, 0, v1, vcc
	v_mov_b32_e32 v4, 0x7f800000
	v_cmp_ngt_f32_e64 vcc, |v2|, s0
	s_mov_b32 s0, 0xf800000
	s_mov_b32 s1, 0x4f800000
	v_cndmask_b32_e32 v1, v4, v1, vcc
	v_mul_f32_e64 v4, |v2|, s1
	v_cmp_lt_f32_e64 vcc, |v2|, s0
	v_cndmask_b32_e64 v2, |v2|, v4, vcc
	v_sqrt_f32_e32 v4, v2
	v_add_f32_e32 v0, 0x3f4df315, v0
	v_sub_f32_e32 v0, v0, v3
	v_mul_f32_e32 v0, 0.5, v0
	v_mul_f32_e32 v0, v1, v0
	v_add_u32_e32 v1, -1, v4
	v_fma_f32 v3, -v1, v4, v2
	v_cmp_ge_f32_e64 s[0:1], 0, v3
	v_add_u32_e32 v3, 1, v4
	v_cndmask_b32_e64 v1, v4, v1, s[0:1]
	v_fma_f32 v4, -v3, v4, v2
	v_cmp_lt_f32_e64 s[0:1], 0, v4
	v_cndmask_b32_e64 v1, v1, v3, s[0:1]
	v_mul_f32_e32 v3, 0x37800000, v1
	v_cndmask_b32_e32 v1, v1, v3, vcc
	v_mov_b32_e32 v3, 0x260
	v_cmp_class_f32_e32 vcc, v2, v3
	v_cndmask_b32_e32 v1, v1, v2, vcc
	v_div_scale_f32 v2, s[0:1], v1, v1, v0
	v_rcp_f32_e32 v3, v2
	v_fma_f32 v4, -v2, v3, 1.0
	v_fmac_f32_e32 v3, v4, v3
	v_div_scale_f32 v4, vcc, v0, v1, v0
	v_mul_f32_e32 v5, v4, v3
	v_fma_f32 v6, -v2, v5, v4
	v_fmac_f32_e32 v5, v6, v3
	v_fma_f32 v2, -v2, v5, v4
	v_div_fmas_f32 v2, v2, v3, v5
	v_div_fixup_f32 v0, v2, v1, v0
.LBB17_659:
	s_or_b64 exec, exec, s[28:29]
	v_mul_lo_u32 v1, v8, s12
	v_ashrrev_i32_e32 v3, 31, v1
	v_mov_b32_e32 v4, s9
	v_add_co_u32_e32 v2, vcc, s8, v1
	v_mov_b32_e32 v1, 11
	v_addc_co_u32_e32 v3, vcc, v4, v3, vcc
	v_cmp_lt_i16_sdwa s[0:1], v10, v1 src0_sel:BYTE_0 src1_sel:DWORD
	s_and_b64 vcc, exec, s[0:1]
	s_cbranch_vccnz .LBB17_667
; %bb.660:
	v_mov_b32_e32 v1, 25
	v_cmp_gt_i16_sdwa s[0:1], v10, v1 src0_sel:BYTE_0 src1_sel:DWORD
	s_and_b64 vcc, exec, s[0:1]
	s_cbranch_vccz .LBB17_668
; %bb.661:
	v_mov_b32_e32 v1, 28
	v_cmp_gt_i16_sdwa s[0:1], v10, v1 src0_sel:BYTE_0 src1_sel:DWORD
	s_and_b64 vcc, exec, s[0:1]
	s_cbranch_vccz .LBB17_669
	;; [unrolled: 5-line block ×4, first 2 shown]
; %bb.664:
	v_mov_b32_e32 v1, 46
	v_cmp_eq_u16_sdwa s[28:29], v10, v1 src0_sel:BYTE_0 src1_sel:DWORD
	s_mov_b64 s[30:31], 0
	s_mov_b64 s[0:1], -1
	s_and_b64 vcc, exec, s[28:29]
	s_mov_b64 s[28:29], 0
	s_cbranch_vccz .LBB17_672
; %bb.665:
	v_bfe_u32 v1, v0, 16, 1
	s_movk_i32 s0, 0x7fff
	v_add3_u32 v1, v0, v1, s0
	v_lshrrev_b32_e32 v1, 16, v1
	v_mov_b32_e32 v4, 0x7fc0
	v_cmp_o_f32_e32 vcc, v0, v0
	v_cndmask_b32_e32 v1, v4, v1, vcc
	global_store_dword v[2:3], v1, off
	s_mov_b64 s[28:29], -1
	s_mov_b64 s[0:1], 0
	s_branch .LBB17_672
.LBB17_666:
	s_mov_b64 s[30:31], 0
                                        ; implicit-def: $vgpr8
	s_mov_b64 s[0:1], s[20:21]
	s_branch .LBB17_783
.LBB17_667:
	s_mov_b64 s[30:31], -1
	s_mov_b64 s[28:29], 0
	s_mov_b64 s[0:1], s[20:21]
	s_branch .LBB17_741
.LBB17_668:
	s_mov_b64 s[30:31], -1
	s_mov_b64 s[28:29], 0
	s_mov_b64 s[0:1], s[20:21]
	s_branch .LBB17_699
.LBB17_669:
	s_mov_b64 s[30:31], -1
	s_mov_b64 s[28:29], 0
	s_mov_b64 s[0:1], s[20:21]
	s_branch .LBB17_682
.LBB17_670:
	s_mov_b64 s[30:31], -1
	s_mov_b64 s[28:29], 0
	s_mov_b64 s[0:1], s[20:21]
	s_branch .LBB17_678
.LBB17_671:
	s_mov_b64 s[30:31], -1
	s_mov_b64 s[28:29], 0
	s_mov_b64 s[0:1], s[20:21]
.LBB17_672:
	s_and_b64 vcc, exec, s[30:31]
	s_cbranch_vccz .LBB17_677
; %bb.673:
	v_mov_b32_e32 v1, 44
	v_cmp_eq_u16_sdwa s[30:31], v10, v1 src0_sel:BYTE_0 src1_sel:DWORD
	s_mov_b64 s[0:1], -1
	s_and_b64 vcc, exec, s[30:31]
	s_cbranch_vccz .LBB17_677
; %bb.674:
	v_bfe_u32 v1, v0, 23, 8
	s_movk_i32 s0, 0xff
	v_cmp_ne_u32_e32 vcc, s0, v1
	v_mov_b32_e32 v4, 0xff
	s_and_saveexec_b64 s[28:29], vcc
; %bb.675:
	s_mov_b32 s0, 0x3fffff
	v_and_b32_e32 v5, 0x400000, v0
	v_and_or_b32 v1, v0, s0, v1
	v_cmp_ne_u32_e32 vcc, 0, v5
	v_cmp_ne_u32_e64 s[0:1], 0, v1
	s_and_b64 s[0:1], vcc, s[0:1]
	v_lshrrev_b32_e32 v4, 23, v0
	v_cndmask_b32_e64 v1, 0, 1, s[0:1]
	v_add_u32_e32 v4, v4, v1
; %bb.676:
	s_or_b64 exec, exec, s[28:29]
	s_mov_b64 s[28:29], -1
	s_mov_b64 s[0:1], 0
	global_store_byte v[2:3], v4, off
.LBB17_677:
	s_mov_b64 s[30:31], 0
.LBB17_678:
	s_and_b64 vcc, exec, s[30:31]
	s_cbranch_vccz .LBB17_681
; %bb.679:
	v_mov_b32_e32 v1, 29
	v_cmp_eq_u16_sdwa s[30:31], v10, v1 src0_sel:BYTE_0 src1_sel:DWORD
	s_mov_b64 s[0:1], -1
	s_and_b64 vcc, exec, s[30:31]
	s_cbranch_vccz .LBB17_681
; %bb.680:
	v_trunc_f32_e32 v1, v0
	v_mul_f32_e32 v4, 0x2f800000, v1
	v_floor_f32_e32 v4, v4
	v_fmac_f32_e32 v1, 0xcf800000, v4
	v_cvt_u32_f32_e32 v5, v4
	v_cvt_u32_f32_e32 v4, v1
	s_mov_b64 s[28:29], -1
	s_mov_b64 s[0:1], 0
	s_mov_b64 s[30:31], 0
	global_store_dwordx2 v[2:3], v[4:5], off
	s_branch .LBB17_682
.LBB17_681:
	s_mov_b64 s[30:31], 0
.LBB17_682:
	s_and_b64 vcc, exec, s[30:31]
	s_cbranch_vccz .LBB17_698
; %bb.683:
	v_mov_b32_e32 v1, 27
	v_cmp_lt_i16_sdwa s[30:31], v10, v1 src0_sel:BYTE_0 src1_sel:DWORD
	s_mov_b64 s[28:29], -1
	s_and_b64 vcc, exec, s[30:31]
	s_cbranch_vccnz .LBB17_689
; %bb.684:
	v_cmp_gt_i16_sdwa s[30:31], v10, v1 src0_sel:BYTE_0 src1_sel:DWORD
	v_cvt_u32_f32_e32 v1, v0
	s_and_b64 vcc, exec, s[30:31]
	s_cbranch_vccz .LBB17_686
; %bb.685:
	s_mov_b64 s[28:29], 0
	global_store_dword v[2:3], v1, off
.LBB17_686:
	s_andn2_b64 vcc, exec, s[28:29]
	s_cbranch_vccnz .LBB17_688
; %bb.687:
	global_store_short v[2:3], v1, off
.LBB17_688:
	s_mov_b64 s[28:29], 0
.LBB17_689:
	s_andn2_b64 vcc, exec, s[28:29]
	s_cbranch_vccnz .LBB17_697
; %bb.690:
	v_and_b32_e32 v1, 0x7fffffff, v0
	s_mov_b32 s28, 0x43800000
	v_cmp_gt_u32_e32 vcc, s28, v1
	v_mov_b32_e32 v4, 0x80
	s_and_saveexec_b64 s[28:29], vcc
	s_cbranch_execz .LBB17_696
; %bb.691:
	s_mov_b32 s30, 0x3bffffff
	v_cmp_lt_u32_e32 vcc, s30, v1
	s_mov_b64 s[30:31], 0
                                        ; implicit-def: $vgpr1
	s_and_saveexec_b64 s[34:35], vcc
	s_xor_b64 s[34:35], exec, s[34:35]
	s_cbranch_execz .LBB17_797
; %bb.692:
	v_bfe_u32 v1, v0, 20, 1
	s_mov_b32 s36, 0x487ffff
	v_add3_u32 v1, v0, v1, s36
	s_mov_b64 s[30:31], exec
	v_lshrrev_b32_e32 v1, 20, v1
	s_or_saveexec_b64 s[34:35], s[34:35]
                                        ; implicit-def: $sgpr36
	s_xor_b64 exec, exec, s[34:35]
	s_cbranch_execnz .LBB17_798
.LBB17_693:
	s_or_b64 exec, exec, s[34:35]
	v_mov_b32_e32 v4, s36
	s_and_saveexec_b64 s[34:35], s[30:31]
.LBB17_694:
	v_lshrrev_b32_e32 v4, 24, v0
	s_movk_i32 s30, 0x80
	v_and_or_b32 v4, v4, s30, v1
.LBB17_695:
	s_or_b64 exec, exec, s[34:35]
.LBB17_696:
	s_or_b64 exec, exec, s[28:29]
	global_store_byte v[2:3], v4, off
.LBB17_697:
	s_mov_b64 s[28:29], -1
.LBB17_698:
	s_mov_b64 s[30:31], 0
.LBB17_699:
	s_and_b64 vcc, exec, s[30:31]
	s_cbranch_vccz .LBB17_740
; %bb.700:
	v_mov_b32_e32 v1, 22
	v_cmp_gt_i16_sdwa s[34:35], v10, v1 src0_sel:BYTE_0 src1_sel:DWORD
	s_mov_b64 s[30:31], -1
	s_and_b64 vcc, exec, s[34:35]
	s_cbranch_vccz .LBB17_732
; %bb.701:
	v_mov_b32_e32 v1, 24
	v_cmp_lt_i16_sdwa s[30:31], v10, v1 src0_sel:BYTE_0 src1_sel:DWORD
	s_mov_b64 s[28:29], -1
	s_and_b64 vcc, exec, s[30:31]
	s_cbranch_vccnz .LBB17_721
; %bb.702:
	v_cmp_gt_i16_sdwa s[30:31], v10, v1 src0_sel:BYTE_0 src1_sel:DWORD
	s_and_b64 vcc, exec, s[30:31]
	s_cbranch_vccz .LBB17_710
; %bb.703:
	v_and_b32_e32 v1, 0x7fffffff, v0
	s_mov_b32 s28, 0x47800000
	v_cmp_gt_u32_e32 vcc, s28, v1
	v_mov_b32_e32 v4, 0x80
	s_and_saveexec_b64 s[28:29], vcc
	s_cbranch_execz .LBB17_709
; %bb.704:
	s_mov_b32 s30, 0x37ffffff
	v_cmp_lt_u32_e32 vcc, s30, v1
	s_mov_b64 s[30:31], 0
                                        ; implicit-def: $vgpr1
	s_and_saveexec_b64 s[34:35], vcc
	s_xor_b64 s[34:35], exec, s[34:35]
	s_cbranch_execz .LBB17_800
; %bb.705:
	v_bfe_u32 v1, v0, 21, 1
	s_mov_b32 s36, 0x88fffff
	v_add3_u32 v1, v0, v1, s36
	s_mov_b64 s[30:31], exec
	v_lshrrev_b32_e32 v1, 21, v1
	s_or_saveexec_b64 s[34:35], s[34:35]
                                        ; implicit-def: $sgpr36
	s_xor_b64 exec, exec, s[34:35]
	s_cbranch_execnz .LBB17_801
.LBB17_706:
	s_or_b64 exec, exec, s[34:35]
	v_mov_b32_e32 v4, s36
	s_and_saveexec_b64 s[34:35], s[30:31]
.LBB17_707:
	v_lshrrev_b32_e32 v4, 24, v0
	s_movk_i32 s30, 0x80
	v_and_or_b32 v4, v4, s30, v1
.LBB17_708:
	s_or_b64 exec, exec, s[34:35]
.LBB17_709:
	s_or_b64 exec, exec, s[28:29]
	s_mov_b64 s[28:29], 0
	global_store_byte v[2:3], v4, off
.LBB17_710:
	s_and_b64 vcc, exec, s[28:29]
	s_cbranch_vccz .LBB17_720
; %bb.711:
	v_and_b32_e32 v4, 0x7fffffff, v0
	s_mov_b32 s28, 0x43f00000
	v_cmp_gt_u32_e32 vcc, s28, v4
                                        ; implicit-def: $vgpr1
	s_and_saveexec_b64 s[28:29], vcc
	s_xor_b64 s[28:29], exec, s[28:29]
	s_cbranch_execz .LBB17_717
; %bb.712:
	s_mov_b32 s30, 0x3c7fffff
	v_cmp_lt_u32_e32 vcc, s30, v4
                                        ; implicit-def: $vgpr1
	s_and_saveexec_b64 s[30:31], vcc
	s_xor_b64 s[30:31], exec, s[30:31]
; %bb.713:
	v_bfe_u32 v1, v0, 20, 1
	s_mov_b32 s34, 0x407ffff
	v_add3_u32 v1, v0, v1, s34
	v_lshrrev_b32_e32 v4, 20, v1
	v_and_b32_e32 v1, 0xff00000, v1
	s_mov_b32 s34, 0x7f00000
	v_mov_b32_e32 v5, 0x7e
	v_cmp_ne_u32_e32 vcc, s34, v1
	v_cndmask_b32_e32 v1, v5, v4, vcc
; %bb.714:
	s_andn2_saveexec_b64 s[30:31], s[30:31]
; %bb.715:
	s_mov_b32 s34, 0x46800000
	v_add_f32_e64 v1, |v0|, s34
; %bb.716:
	s_or_b64 exec, exec, s[30:31]
                                        ; implicit-def: $vgpr4
.LBB17_717:
	s_andn2_saveexec_b64 s[28:29], s[28:29]
; %bb.718:
	s_mov_b32 s30, 0x7f800000
	v_mov_b32_e32 v1, 0x7e
	v_mov_b32_e32 v5, 0x7f
	v_cmp_lt_u32_e32 vcc, s30, v4
	v_cndmask_b32_e32 v1, v1, v5, vcc
; %bb.719:
	s_or_b64 exec, exec, s[28:29]
	v_lshrrev_b32_e32 v4, 24, v0
	s_movk_i32 s28, 0x80
	v_and_or_b32 v1, v4, s28, v1
	global_store_byte v[2:3], v1, off
.LBB17_720:
	s_mov_b64 s[28:29], 0
.LBB17_721:
	s_andn2_b64 vcc, exec, s[28:29]
	s_cbranch_vccnz .LBB17_731
; %bb.722:
	v_and_b32_e32 v4, 0x7fffffff, v0
	s_mov_b32 s28, 0x47800000
	v_cmp_gt_u32_e32 vcc, s28, v4
                                        ; implicit-def: $vgpr1
	s_and_saveexec_b64 s[28:29], vcc
	s_xor_b64 s[28:29], exec, s[28:29]
	s_cbranch_execz .LBB17_728
; %bb.723:
	s_mov_b32 s30, 0x387fffff
	v_cmp_lt_u32_e32 vcc, s30, v4
                                        ; implicit-def: $vgpr1
	s_and_saveexec_b64 s[30:31], vcc
	s_xor_b64 s[30:31], exec, s[30:31]
; %bb.724:
	v_bfe_u32 v1, v0, 21, 1
	s_mov_b32 s34, 0x80fffff
	v_add3_u32 v1, v0, v1, s34
	v_lshrrev_b32_e32 v1, 21, v1
; %bb.725:
	s_andn2_saveexec_b64 s[30:31], s[30:31]
; %bb.726:
	s_mov_b32 s34, 0x43000000
	v_add_f32_e64 v1, |v0|, s34
; %bb.727:
	s_or_b64 exec, exec, s[30:31]
                                        ; implicit-def: $vgpr4
.LBB17_728:
	s_andn2_saveexec_b64 s[28:29], s[28:29]
; %bb.729:
	s_mov_b32 s30, 0x7f800000
	v_mov_b32_e32 v1, 0x7c
	v_mov_b32_e32 v5, 0x7f
	v_cmp_lt_u32_e32 vcc, s30, v4
	v_cndmask_b32_e32 v1, v1, v5, vcc
; %bb.730:
	s_or_b64 exec, exec, s[28:29]
	v_lshrrev_b32_e32 v4, 24, v0
	s_movk_i32 s28, 0x80
	v_and_or_b32 v1, v4, s28, v1
	global_store_byte v[2:3], v1, off
.LBB17_731:
	s_mov_b64 s[30:31], 0
	s_mov_b64 s[28:29], -1
.LBB17_732:
	s_andn2_b64 vcc, exec, s[30:31]
	s_cbranch_vccnz .LBB17_740
; %bb.733:
	v_mov_b32_e32 v1, 14
	v_cmp_gt_i16_sdwa s[34:35], v10, v1 src0_sel:BYTE_0 src1_sel:DWORD
	s_mov_b64 s[30:31], -1
	s_and_b64 vcc, exec, s[34:35]
	s_cbranch_vccz .LBB17_737
; %bb.734:
	v_mov_b32_e32 v1, 15
	v_cmp_eq_u16_sdwa s[30:31], v10, v1 src0_sel:BYTE_0 src1_sel:DWORD
	s_mov_b64 s[0:1], -1
	s_and_b64 vcc, exec, s[30:31]
	s_cbranch_vccz .LBB17_736
; %bb.735:
	v_bfe_u32 v1, v0, 16, 1
	s_movk_i32 s0, 0x7fff
	v_add3_u32 v1, v0, v1, s0
	v_lshrrev_b32_e32 v1, 16, v1
	v_mov_b32_e32 v4, 0x7fc0
	v_cmp_o_f32_e32 vcc, v0, v0
	v_cndmask_b32_e32 v1, v4, v1, vcc
	global_store_short v[2:3], v1, off
	s_mov_b64 s[28:29], -1
	s_mov_b64 s[0:1], 0
.LBB17_736:
	s_mov_b64 s[30:31], 0
.LBB17_737:
	s_and_b64 vcc, exec, s[30:31]
	s_cbranch_vccz .LBB17_740
; %bb.738:
	v_mov_b32_e32 v1, 11
	v_cmp_eq_u16_sdwa s[30:31], v10, v1 src0_sel:BYTE_0 src1_sel:DWORD
	s_mov_b64 s[0:1], -1
	s_and_b64 vcc, exec, s[30:31]
	s_cbranch_vccz .LBB17_740
; %bb.739:
	v_cmp_neq_f32_e32 vcc, 0, v0
	v_cndmask_b32_e64 v1, 0, 1, vcc
	s_mov_b64 s[28:29], -1
	s_mov_b64 s[0:1], 0
	global_store_byte v[2:3], v1, off
.LBB17_740:
	s_mov_b64 s[30:31], 0
.LBB17_741:
	s_and_b64 vcc, exec, s[30:31]
	s_cbranch_vccz .LBB17_780
; %bb.742:
	v_mov_b32_e32 v1, 5
	v_cmp_lt_i16_sdwa s[30:31], v10, v1 src0_sel:BYTE_0 src1_sel:DWORD
	s_mov_b64 s[28:29], -1
	s_and_b64 vcc, exec, s[30:31]
	s_cbranch_vccnz .LBB17_763
; %bb.743:
	v_mov_b32_e32 v1, 8
	v_cmp_lt_i16_sdwa s[30:31], v10, v1 src0_sel:BYTE_0 src1_sel:DWORD
	s_and_b64 vcc, exec, s[30:31]
	s_cbranch_vccnz .LBB17_753
; %bb.744:
	v_mov_b32_e32 v1, 9
	v_cmp_lt_i16_sdwa s[30:31], v10, v1 src0_sel:BYTE_0 src1_sel:DWORD
	s_and_b64 vcc, exec, s[30:31]
	s_cbranch_vccnz .LBB17_750
; %bb.745:
	v_cmp_gt_i16_sdwa s[30:31], v10, v1 src0_sel:BYTE_0 src1_sel:DWORD
	s_and_b64 vcc, exec, s[30:31]
	s_cbranch_vccz .LBB17_747
; %bb.746:
	v_mov_b32_e32 v6, 0
	v_cvt_f64_f32_e32 v[4:5], v0
	v_mov_b32_e32 v7, v6
	s_mov_b64 s[28:29], 0
	global_store_dwordx4 v[2:3], v[4:7], off
.LBB17_747:
	s_andn2_b64 vcc, exec, s[28:29]
	s_cbranch_vccnz .LBB17_749
; %bb.748:
	v_mov_b32_e32 v1, 0
	global_store_dwordx2 v[2:3], v[0:1], off
.LBB17_749:
	s_mov_b64 s[28:29], 0
.LBB17_750:
	s_andn2_b64 vcc, exec, s[28:29]
	s_cbranch_vccnz .LBB17_752
; %bb.751:
	v_cvt_f16_f32_e32 v1, v0
	global_store_dword v[2:3], v1, off
.LBB17_752:
	s_mov_b64 s[28:29], 0
.LBB17_753:
	s_andn2_b64 vcc, exec, s[28:29]
	s_cbranch_vccnz .LBB17_762
; %bb.754:
	v_mov_b32_e32 v1, 6
	v_cmp_lt_i16_sdwa s[30:31], v10, v1 src0_sel:BYTE_0 src1_sel:DWORD
	s_mov_b64 s[28:29], -1
	s_and_b64 vcc, exec, s[30:31]
	s_cbranch_vccnz .LBB17_760
; %bb.755:
	v_cmp_gt_i16_sdwa s[30:31], v10, v1 src0_sel:BYTE_0 src1_sel:DWORD
	s_and_b64 vcc, exec, s[30:31]
	s_cbranch_vccz .LBB17_757
; %bb.756:
	v_cvt_f64_f32_e32 v[4:5], v0
	s_mov_b64 s[28:29], 0
	global_store_dwordx2 v[2:3], v[4:5], off
.LBB17_757:
	s_andn2_b64 vcc, exec, s[28:29]
	s_cbranch_vccnz .LBB17_759
; %bb.758:
	global_store_dword v[2:3], v0, off
.LBB17_759:
	s_mov_b64 s[28:29], 0
.LBB17_760:
	s_andn2_b64 vcc, exec, s[28:29]
	s_cbranch_vccnz .LBB17_762
; %bb.761:
	v_cvt_f16_f32_e32 v1, v0
	global_store_short v[2:3], v1, off
.LBB17_762:
	s_mov_b64 s[28:29], 0
.LBB17_763:
	s_andn2_b64 vcc, exec, s[28:29]
	s_cbranch_vccnz .LBB17_779
; %bb.764:
	v_mov_b32_e32 v1, 2
	v_cmp_lt_i16_sdwa s[30:31], v10, v1 src0_sel:BYTE_0 src1_sel:DWORD
	s_mov_b64 s[28:29], -1
	s_and_b64 vcc, exec, s[30:31]
	s_cbranch_vccnz .LBB17_774
; %bb.765:
	v_mov_b32_e32 v1, 3
	v_cmp_lt_i16_sdwa s[30:31], v10, v1 src0_sel:BYTE_0 src1_sel:DWORD
	s_and_b64 vcc, exec, s[30:31]
	s_cbranch_vccnz .LBB17_771
; %bb.766:
	v_cmp_gt_i16_sdwa s[30:31], v10, v1 src0_sel:BYTE_0 src1_sel:DWORD
	s_and_b64 vcc, exec, s[30:31]
	s_cbranch_vccz .LBB17_768
; %bb.767:
	v_trunc_f32_e32 v1, v0
	s_mov_b32 s28, 0x2f800000
	v_mul_f32_e64 v4, |v1|, s28
	v_floor_f32_e32 v4, v4
	s_mov_b32 s28, 0xcf800000
	v_cvt_u32_f32_e32 v5, v4
	v_fma_f32 v4, v4, s28, |v1|
	v_cvt_u32_f32_e32 v4, v4
	v_ashrrev_i32_e32 v1, 31, v1
	v_xor_b32_e32 v5, v5, v1
	s_mov_b64 s[28:29], 0
	v_xor_b32_e32 v4, v4, v1
	v_sub_co_u32_e32 v4, vcc, v4, v1
	v_subb_co_u32_e32 v5, vcc, v5, v1, vcc
	global_store_dwordx2 v[2:3], v[4:5], off
.LBB17_768:
	s_andn2_b64 vcc, exec, s[28:29]
	s_cbranch_vccnz .LBB17_770
; %bb.769:
	v_cvt_i32_f32_e32 v1, v0
	global_store_dword v[2:3], v1, off
.LBB17_770:
	s_mov_b64 s[28:29], 0
.LBB17_771:
	s_andn2_b64 vcc, exec, s[28:29]
	s_cbranch_vccnz .LBB17_773
; %bb.772:
	v_cvt_i32_f32_e32 v1, v0
	global_store_short v[2:3], v1, off
.LBB17_773:
	s_mov_b64 s[28:29], 0
.LBB17_774:
	s_andn2_b64 vcc, exec, s[28:29]
	s_cbranch_vccnz .LBB17_779
; %bb.775:
	v_mov_b32_e32 v1, 0
	v_cmp_gt_i16_sdwa s[30:31], v10, v1 src0_sel:BYTE_0 src1_sel:DWORD
	s_mov_b64 s[28:29], -1
	s_and_b64 vcc, exec, s[30:31]
	s_cbranch_vccz .LBB17_777
; %bb.776:
	v_cvt_i32_f32_e32 v1, v0
	s_mov_b64 s[28:29], 0
	global_store_byte v[2:3], v1, off
.LBB17_777:
	s_andn2_b64 vcc, exec, s[28:29]
	s_cbranch_vccnz .LBB17_779
; %bb.778:
	v_trunc_f32_e32 v0, v0
	s_mov_b32 s28, 0x2f800000
	v_mul_f32_e64 v1, |v0|, s28
	v_floor_f32_e32 v1, v1
	s_mov_b32 s28, 0xcf800000
	v_fma_f32 v1, v1, s28, |v0|
	v_cvt_u32_f32_e32 v1, v1
	v_ashrrev_i32_e32 v0, 31, v0
	v_xor_b32_e32 v1, v1, v0
	v_sub_u32_e32 v0, v1, v0
	global_store_byte v[2:3], v0, off
.LBB17_779:
	s_mov_b64 s[28:29], -1
.LBB17_780:
	s_andn2_b64 vcc, exec, s[28:29]
	s_cbranch_vccnz .LBB17_782
; %bb.781:
	v_add_u32_e32 v8, 0x80, v8
	s_mov_b64 s[30:31], -1
	s_branch .LBB17_783
.LBB17_782:
	s_mov_b64 s[30:31], 0
                                        ; implicit-def: $vgpr8
.LBB17_783:
	s_andn2_b64 s[28:29], s[20:21], exec
	s_and_b64 s[0:1], s[0:1], exec
	s_or_b64 s[28:29], s[28:29], s[0:1]
	s_andn2_b64 s[0:1], s[18:19], exec
	s_and_b64 s[26:27], s[26:27], exec
	s_or_b64 s[0:1], s[0:1], s[26:27]
	s_orn2_b64 s[34:35], s[30:31], exec
.LBB17_784:
	s_or_b64 exec, exec, s[24:25]
	s_mov_b64 s[30:31], 0
	s_mov_b64 s[26:27], 0
	;; [unrolled: 1-line block ×3, first 2 shown]
                                        ; implicit-def: $vgpr0_vgpr1
                                        ; implicit-def: $vgpr5
	s_and_saveexec_b64 s[24:25], s[34:35]
	s_cbranch_execz .LBB17_869
; %bb.785:
	v_cmp_gt_i32_e32 vcc, s33, v8
	s_mov_b64 s[34:35], 0
	s_mov_b64 s[38:39], s[0:1]
	;; [unrolled: 1-line block ×3, first 2 shown]
                                        ; implicit-def: $vgpr0_vgpr1
                                        ; implicit-def: $vgpr5
	s_and_saveexec_b64 s[26:27], vcc
	s_cbranch_execz .LBB17_868
; %bb.786:
	v_mul_lo_u32 v0, v8, s13
	v_ashrrev_i32_e32 v1, 31, v0
	s_waitcnt vmcnt(0)
	v_mov_b32_e32 v2, s11
	v_add_co_u32_e32 v0, vcc, s10, v0
	v_addc_co_u32_e32 v1, vcc, v2, v1, vcc
	v_cmp_gt_i16_e32 vcc, 11, v9
	s_cbranch_vccnz .LBB17_793
; %bb.787:
	v_cmp_lt_i16_e32 vcc, 25, v9
	s_cbranch_vccz .LBB17_794
; %bb.788:
	v_cmp_lt_i16_e32 vcc, 28, v9
	s_cbranch_vccz .LBB17_795
	;; [unrolled: 3-line block ×4, first 2 shown]
; %bb.791:
	v_cmp_eq_u16_e32 vcc, 46, v9
	s_mov_b64 s[38:39], 0
	s_cbranch_vccz .LBB17_802
; %bb.792:
	global_load_dword v2, v[0:1], off
	s_mov_b64 s[36:37], -1
	s_waitcnt vmcnt(0)
	v_lshlrev_b32_e32 v5, 16, v2
	s_branch .LBB17_804
.LBB17_793:
	s_mov_b64 s[38:39], -1
                                        ; implicit-def: $vgpr5
	s_mov_b64 s[30:31], s[0:1]
	s_branch .LBB17_867
.LBB17_794:
	s_mov_b64 s[38:39], -1
	s_mov_b64 s[30:31], s[0:1]
                                        ; implicit-def: $vgpr5
	s_branch .LBB17_833
.LBB17_795:
	s_mov_b64 s[38:39], -1
	s_mov_b64 s[30:31], s[0:1]
                                        ; implicit-def: $vgpr5
	s_branch .LBB17_814
.LBB17_796:
	s_mov_b64 s[38:39], -1
	s_mov_b64 s[30:31], s[0:1]
                                        ; implicit-def: $vgpr5
	s_branch .LBB17_809
.LBB17_797:
	s_or_saveexec_b64 s[34:35], s[34:35]
                                        ; implicit-def: $sgpr36
	s_xor_b64 exec, exec, s[34:35]
	s_cbranch_execz .LBB17_693
.LBB17_798:
	s_mov_b32 s36, 0x46000000
	v_add_f32_e64 v1, |v0|, s36
	v_and_b32_e32 v1, 0xff, v1
	v_cmp_ne_u32_e32 vcc, 0, v1
	s_andn2_b64 s[30:31], s[30:31], exec
	s_and_b64 s[38:39], vcc, exec
	s_mov_b32 s36, 0
	s_or_b64 s[30:31], s[30:31], s[38:39]
	s_or_b64 exec, exec, s[34:35]
	v_mov_b32_e32 v4, s36
	s_and_saveexec_b64 s[34:35], s[30:31]
	s_cbranch_execnz .LBB17_694
	s_branch .LBB17_695
.LBB17_799:
	s_mov_b64 s[38:39], -1
	s_mov_b64 s[30:31], s[0:1]
	s_branch .LBB17_803
.LBB17_800:
	s_or_saveexec_b64 s[34:35], s[34:35]
                                        ; implicit-def: $sgpr36
	s_xor_b64 exec, exec, s[34:35]
	s_cbranch_execz .LBB17_706
.LBB17_801:
	s_mov_b32 s36, 0x42800000
	v_add_f32_e64 v1, |v0|, s36
	v_and_b32_e32 v1, 0xff, v1
	v_cmp_ne_u32_e32 vcc, 0, v1
	s_andn2_b64 s[30:31], s[30:31], exec
	s_and_b64 s[38:39], vcc, exec
	s_mov_b32 s36, 0
	s_or_b64 s[30:31], s[30:31], s[38:39]
	s_or_b64 exec, exec, s[34:35]
	v_mov_b32_e32 v4, s36
	s_and_saveexec_b64 s[34:35], s[30:31]
	s_cbranch_execnz .LBB17_707
	s_branch .LBB17_708
.LBB17_802:
	s_mov_b64 s[30:31], -1
.LBB17_803:
                                        ; implicit-def: $vgpr5
.LBB17_804:
	s_and_b64 vcc, exec, s[38:39]
	s_cbranch_vccz .LBB17_808
; %bb.805:
	v_cmp_eq_u16_e32 vcc, 44, v9
	s_cbranch_vccz .LBB17_807
; %bb.806:
	global_load_ubyte v2, v[0:1], off
	s_movk_i32 s33, 0xff
	v_mov_b32_e32 v3, 0x7f800001
	v_mov_b32_e32 v4, 0x400000
	s_mov_b64 s[30:31], 0
	s_mov_b64 s[36:37], -1
	s_waitcnt vmcnt(0)
	v_lshlrev_b32_e32 v5, 23, v2
	v_cmp_ne_u32_e32 vcc, s33, v2
	v_cndmask_b32_e32 v3, v3, v5, vcc
	v_cmp_ne_u32_e32 vcc, 0, v2
	v_cndmask_b32_e32 v5, v4, v3, vcc
	s_branch .LBB17_808
.LBB17_807:
	s_mov_b64 s[30:31], -1
                                        ; implicit-def: $vgpr5
.LBB17_808:
	s_mov_b64 s[38:39], 0
.LBB17_809:
	s_and_b64 vcc, exec, s[38:39]
	s_cbranch_vccz .LBB17_813
; %bb.810:
	v_cmp_eq_u16_e32 vcc, 29, v9
	s_cbranch_vccz .LBB17_812
; %bb.811:
	global_load_dwordx2 v[2:3], v[0:1], off
	s_mov_b64 s[30:31], 0
	s_mov_b64 s[36:37], -1
	s_mov_b64 s[38:39], 0
	s_waitcnt vmcnt(0)
	v_ffbh_u32_e32 v4, v3
	v_min_u32_e32 v4, 32, v4
	v_lshlrev_b64 v[2:3], v4, v[2:3]
	v_min_u32_e32 v2, 1, v2
	v_or_b32_e32 v2, v3, v2
	v_cvt_f32_u32_e32 v2, v2
	v_sub_u32_e32 v3, 32, v4
	v_ldexp_f32 v5, v2, v3
	s_branch .LBB17_814
.LBB17_812:
	s_mov_b64 s[30:31], -1
                                        ; implicit-def: $vgpr5
.LBB17_813:
	s_mov_b64 s[38:39], 0
.LBB17_814:
	s_and_b64 vcc, exec, s[38:39]
	s_cbranch_vccz .LBB17_832
; %bb.815:
	v_cmp_gt_i16_e32 vcc, 27, v9
	s_cbranch_vccnz .LBB17_818
; %bb.816:
	v_cmp_lt_i16_e32 vcc, 27, v9
	s_cbranch_vccz .LBB17_819
; %bb.817:
	global_load_dword v2, v[0:1], off
	s_mov_b64 s[36:37], 0
	s_waitcnt vmcnt(0)
	v_cvt_f32_u32_e32 v5, v2
	s_branch .LBB17_820
.LBB17_818:
	s_mov_b64 s[36:37], -1
                                        ; implicit-def: $vgpr5
	s_branch .LBB17_823
.LBB17_819:
	s_mov_b64 s[36:37], -1
                                        ; implicit-def: $vgpr5
.LBB17_820:
	s_andn2_b64 vcc, exec, s[36:37]
	s_cbranch_vccnz .LBB17_822
; %bb.821:
	global_load_ushort v2, v[0:1], off
	s_waitcnt vmcnt(0)
	v_cvt_f32_u32_e32 v5, v2
.LBB17_822:
	s_mov_b64 s[36:37], 0
.LBB17_823:
	s_andn2_b64 vcc, exec, s[36:37]
	s_cbranch_vccnz .LBB17_831
; %bb.824:
	global_load_ubyte v2, v[0:1], off
	s_movk_i32 s33, 0x7f
	s_mov_b64 s[36:37], 0
	s_waitcnt vmcnt(0)
	v_cmp_lt_i16_e32 vcc, s33, v2
                                        ; implicit-def: $sgpr33
	s_and_saveexec_b64 s[38:39], vcc
	s_xor_b64 s[38:39], exec, s[38:39]
	s_cbranch_execz .LBB17_845
; %bb.825:
	s_movk_i32 s33, 0x80
	v_cmp_eq_u16_e32 vcc, s33, v2
	s_mov_b64 s[36:37], -1
                                        ; implicit-def: $sgpr33
	s_and_saveexec_b64 s[40:41], vcc
; %bb.826:
	s_mov_b32 s33, 0x7f800001
	s_xor_b64 s[36:37], exec, -1
; %bb.827:
	s_or_b64 exec, exec, s[40:41]
	s_and_b64 s[36:37], s[36:37], exec
	s_or_saveexec_b64 s[38:39], s[38:39]
	v_mov_b32_e32 v5, s33
	s_xor_b64 exec, exec, s[38:39]
	s_cbranch_execnz .LBB17_846
.LBB17_828:
	s_or_b64 exec, exec, s[38:39]
	s_and_saveexec_b64 s[38:39], s[36:37]
	s_cbranch_execz .LBB17_830
.LBB17_829:
	v_lshlrev_b32_e32 v3, 24, v2
	v_and_b32_e32 v2, 0xffff, v2
	v_and_b32_e32 v4, 7, v2
	v_ffbh_u32_e32 v6, v4
	v_min_u32_e32 v6, 32, v6
	v_subrev_u32_e32 v7, 28, v6
	v_bfe_u32 v5, v2, 3, 4
	v_lshlrev_b32_e32 v2, v7, v2
	v_sub_u32_e32 v6, 29, v6
	v_and_b32_e32 v2, 7, v2
	v_cmp_eq_u32_e32 vcc, 0, v5
	v_cndmask_b32_e32 v5, v5, v6, vcc
	v_cndmask_b32_e32 v2, v4, v2, vcc
	v_mov_b32_e32 v4, 0x3b800000
	v_lshlrev_b32_e32 v2, 20, v2
	v_and_b32_e32 v3, 0x80000000, v3
	v_lshl_add_u32 v4, v5, 23, v4
	v_or3_b32 v5, v3, v4, v2
.LBB17_830:
	s_or_b64 exec, exec, s[38:39]
.LBB17_831:
	s_mov_b64 s[36:37], -1
.LBB17_832:
	s_mov_b64 s[38:39], 0
.LBB17_833:
	s_and_b64 vcc, exec, s[38:39]
	s_cbranch_vccz .LBB17_866
; %bb.834:
	v_cmp_lt_i16_e32 vcc, 22, v9
	s_cbranch_vccz .LBB17_844
; %bb.835:
	v_cmp_gt_i16_e32 vcc, 24, v9
	s_cbranch_vccnz .LBB17_847
; %bb.836:
	v_cmp_lt_i16_e32 vcc, 24, v9
	s_cbranch_vccz .LBB17_848
; %bb.837:
	global_load_ubyte v2, v[0:1], off
	s_movk_i32 s33, 0x7f
	s_waitcnt vmcnt(0)
	v_cmp_lt_i16_e32 vcc, s33, v2
                                        ; implicit-def: $sgpr33
	s_and_saveexec_b64 s[36:37], vcc
	s_xor_b64 s[36:37], exec, s[36:37]
	s_cbranch_execz .LBB17_860
; %bb.838:
	s_movk_i32 s33, 0x80
	v_cmp_eq_u16_e32 vcc, s33, v2
	s_mov_b64 s[34:35], -1
                                        ; implicit-def: $sgpr33
	s_and_saveexec_b64 s[38:39], vcc
; %bb.839:
	s_mov_b32 s33, 0x7f800001
	s_xor_b64 s[34:35], exec, -1
; %bb.840:
	s_or_b64 exec, exec, s[38:39]
	s_and_b64 s[34:35], s[34:35], exec
	s_or_saveexec_b64 s[36:37], s[36:37]
	v_mov_b32_e32 v5, s33
	s_xor_b64 exec, exec, s[36:37]
	s_cbranch_execnz .LBB17_861
.LBB17_841:
	s_or_b64 exec, exec, s[36:37]
	s_and_saveexec_b64 s[36:37], s[34:35]
	s_cbranch_execz .LBB17_843
.LBB17_842:
	v_lshlrev_b32_e32 v3, 24, v2
	v_and_b32_e32 v2, 0xffff, v2
	v_and_b32_e32 v4, 3, v2
	v_ffbh_u32_e32 v6, v4
	v_min_u32_e32 v6, 32, v6
	v_subrev_u32_e32 v7, 29, v6
	v_bfe_u32 v5, v2, 2, 5
	v_lshlrev_b32_e32 v2, v7, v2
	v_sub_u32_e32 v6, 30, v6
	v_and_b32_e32 v2, 3, v2
	v_cmp_eq_u32_e32 vcc, 0, v5
	v_cndmask_b32_e32 v5, v5, v6, vcc
	v_cndmask_b32_e32 v2, v4, v2, vcc
	v_mov_b32_e32 v4, 0x37800000
	v_lshlrev_b32_e32 v2, 21, v2
	v_and_b32_e32 v3, 0x80000000, v3
	v_lshl_add_u32 v4, v5, 23, v4
	v_or3_b32 v5, v3, v4, v2
.LBB17_843:
	s_or_b64 exec, exec, s[36:37]
	s_mov_b64 s[34:35], 0
	s_branch .LBB17_849
.LBB17_844:
	s_mov_b64 s[34:35], -1
                                        ; implicit-def: $vgpr5
	s_branch .LBB17_855
.LBB17_845:
	s_or_saveexec_b64 s[38:39], s[38:39]
	v_mov_b32_e32 v5, s33
	s_xor_b64 exec, exec, s[38:39]
	s_cbranch_execz .LBB17_828
.LBB17_846:
	v_cmp_ne_u16_e32 vcc, 0, v2
	s_andn2_b64 s[36:37], s[36:37], exec
	s_and_b64 s[40:41], vcc, exec
	v_mov_b32_e32 v5, 0
	s_or_b64 s[36:37], s[36:37], s[40:41]
	s_or_b64 exec, exec, s[38:39]
	s_and_saveexec_b64 s[38:39], s[36:37]
	s_cbranch_execnz .LBB17_829
	s_branch .LBB17_830
.LBB17_847:
	s_mov_b64 s[34:35], -1
                                        ; implicit-def: $vgpr5
	s_branch .LBB17_852
.LBB17_848:
	s_mov_b64 s[34:35], -1
                                        ; implicit-def: $vgpr5
.LBB17_849:
	s_and_b64 vcc, exec, s[34:35]
	s_cbranch_vccz .LBB17_851
; %bb.850:
	global_load_ubyte v2, v[0:1], off
	s_mov_b32 s33, 0x7f800000
	s_waitcnt vmcnt(0)
	v_lshlrev_b32_e32 v2, 24, v2
	v_and_b32_e32 v3, 0x7f000000, v2
	v_ffbh_u32_e32 v4, v3
	v_min_u32_e32 v4, 32, v4
	v_sub_u32_e64 v4, v4, 4 clamp
	v_lshlrev_b32_e32 v6, v4, v3
	v_lshlrev_b32_e32 v4, 23, v4
	v_lshrrev_b32_e32 v6, 4, v6
	v_add_u32_e32 v5, 0x1000000, v3
	v_sub_u32_e32 v4, v6, v4
	v_ashrrev_i32_e32 v5, 8, v5
	v_add_u32_e32 v4, 0x3c000000, v4
	v_and_or_b32 v4, v5, s33, v4
	v_cmp_ne_u32_e32 vcc, 0, v3
	v_cndmask_b32_e32 v3, 0, v4, vcc
	s_brev_b32 s33, 1
	v_and_or_b32 v5, v2, s33, v3
.LBB17_851:
	s_mov_b64 s[34:35], 0
.LBB17_852:
	s_andn2_b64 vcc, exec, s[34:35]
	s_cbranch_vccnz .LBB17_854
; %bb.853:
	global_load_ubyte v2, v[0:1], off
	s_movk_i32 s33, 0x7f00
	s_brev_b32 s34, 16
	s_waitcnt vmcnt(0)
	v_lshlrev_b16_e32 v3, 8, v2
	v_lshlrev_b32_e32 v2, 25, v2
	v_lshrrev_b32_e32 v4, 4, v2
	v_and_or_b32 v5, v3, s33, 0.5
	v_or_b32_e32 v4, 0x70000000, v4
	v_add_f32_e32 v5, -0.5, v5
	v_mul_f32_e32 v4, 0x7800000, v4
	v_cmp_gt_u32_e32 vcc, s34, v2
	v_bfe_i32 v3, v3, 0, 16
	v_cndmask_b32_e32 v2, v4, v5, vcc
	s_brev_b32 s33, 1
	v_and_or_b32 v5, v3, s33, v2
.LBB17_854:
	s_mov_b64 s[34:35], 0
	s_mov_b64 s[36:37], -1
.LBB17_855:
	s_andn2_b64 vcc, exec, s[34:35]
	s_mov_b64 s[34:35], 0
	s_cbranch_vccnz .LBB17_866
; %bb.856:
	v_cmp_lt_i16_e32 vcc, 14, v9
	s_cbranch_vccz .LBB17_859
; %bb.857:
	v_cmp_eq_u16_e32 vcc, 15, v9
	s_cbranch_vccz .LBB17_862
; %bb.858:
	global_load_ushort v2, v[0:1], off
	s_mov_b64 s[30:31], 0
	s_mov_b64 s[36:37], -1
	s_waitcnt vmcnt(0)
	v_lshlrev_b32_e32 v5, 16, v2
	s_branch .LBB17_863
.LBB17_859:
	s_mov_b64 s[38:39], -1
                                        ; implicit-def: $vgpr5
	s_branch .LBB17_864
.LBB17_860:
	s_or_saveexec_b64 s[36:37], s[36:37]
	v_mov_b32_e32 v5, s33
	s_xor_b64 exec, exec, s[36:37]
	s_cbranch_execz .LBB17_841
.LBB17_861:
	v_cmp_ne_u16_e32 vcc, 0, v2
	s_andn2_b64 s[34:35], s[34:35], exec
	s_and_b64 s[38:39], vcc, exec
	v_mov_b32_e32 v5, 0
	s_or_b64 s[34:35], s[34:35], s[38:39]
	s_or_b64 exec, exec, s[36:37]
	s_and_saveexec_b64 s[36:37], s[34:35]
	s_cbranch_execnz .LBB17_842
	s_branch .LBB17_843
.LBB17_862:
	s_mov_b64 s[30:31], -1
                                        ; implicit-def: $vgpr5
.LBB17_863:
	s_mov_b64 s[38:39], 0
.LBB17_864:
	s_and_b64 vcc, exec, s[38:39]
	s_cbranch_vccz .LBB17_866
; %bb.865:
	v_cmp_ne_u16_e32 vcc, 11, v9
	s_andn2_b64 s[30:31], s[30:31], exec
	s_and_b64 s[38:39], vcc, exec
	s_mov_b64 s[34:35], -1
	s_or_b64 s[30:31], s[30:31], s[38:39]
                                        ; implicit-def: $vgpr5
.LBB17_866:
	s_mov_b64 s[38:39], 0
.LBB17_867:
	s_and_b64 s[40:41], s[38:39], exec
	s_andn2_b64 s[38:39], s[0:1], exec
	s_and_b64 s[30:31], s[30:31], exec
	s_and_b64 s[36:37], s[36:37], exec
	s_and_b64 s[34:35], s[34:35], exec
	s_or_b64 s[38:39], s[38:39], s[30:31]
.LBB17_868:
	s_or_b64 exec, exec, s[26:27]
	s_and_b64 s[30:31], s[34:35], exec
	s_andn2_b64 s[0:1], s[0:1], exec
	s_and_b64 s[34:35], s[38:39], exec
	s_and_b64 s[36:37], s[36:37], exec
	;; [unrolled: 1-line block ×3, first 2 shown]
	s_or_b64 s[0:1], s[0:1], s[34:35]
.LBB17_869:
	s_or_b64 exec, exec, s[24:25]
	s_andn2_b64 s[20:21], s[20:21], exec
	s_and_b64 s[24:25], s[28:29], exec
	s_andn2_b64 s[18:19], s[18:19], exec
	s_and_b64 s[0:1], s[0:1], exec
	s_or_b64 s[20:21], s[20:21], s[24:25]
	s_and_b64 s[28:29], s[36:37], exec
	s_and_b64 s[26:27], s[26:27], exec
	;; [unrolled: 1-line block ×3, first 2 shown]
	s_or_b64 s[18:19], s[18:19], s[0:1]
.LBB17_870:
	s_or_b64 exec, exec, s[22:23]
	s_andn2_b64 s[0:1], s[6:7], exec
	s_and_b64 s[6:7], s[20:21], exec
	s_andn2_b64 s[14:15], s[14:15], exec
	s_and_b64 s[18:19], s[18:19], exec
	s_or_b64 s[6:7], s[0:1], s[6:7]
	s_and_b64 s[0:1], s[28:29], exec
	s_and_b64 s[22:23], s[26:27], exec
	;; [unrolled: 1-line block ×3, first 2 shown]
	s_or_b64 s[14:15], s[14:15], s[18:19]
	s_or_b64 exec, exec, s[16:17]
	s_mov_b64 s[16:17], 0
	s_and_saveexec_b64 s[18:19], s[14:15]
	s_cbranch_execz .LBB17_266
.LBB17_871:
	s_mov_b64 s[16:17], exec
	s_andn2_b64 s[20:21], s[20:21], exec
	s_trap 2
                                        ; implicit-def: $vgpr5
	s_or_b64 exec, exec, s[18:19]
	s_and_saveexec_b64 s[14:15], s[20:21]
	s_xor_b64 s[14:15], exec, s[14:15]
	s_cbranch_execnz .LBB17_267
.LBB17_872:
	s_or_b64 exec, exec, s[14:15]
	s_and_saveexec_b64 s[14:15], s[22:23]
	s_cbranch_execz .LBB17_918
.LBB17_873:
	v_cmp_gt_i16_e32 vcc, 5, v9
	s_cbranch_vccnz .LBB17_878
; %bb.874:
	v_cmp_gt_i16_e32 vcc, 8, v9
	s_cbranch_vccnz .LBB17_879
; %bb.875:
	;; [unrolled: 3-line block ×3, first 2 shown]
	v_cmp_lt_i16_e32 vcc, 9, v9
	s_cbranch_vccz .LBB17_881
; %bb.877:
	global_load_dwordx2 v[2:3], v[0:1], off
	s_mov_b64 s[18:19], 0
	s_waitcnt vmcnt(0)
	v_cvt_f32_f64_e32 v5, v[2:3]
	s_branch .LBB17_882
.LBB17_878:
                                        ; implicit-def: $vgpr5
	s_branch .LBB17_899
.LBB17_879:
                                        ; implicit-def: $vgpr5
	s_branch .LBB17_888
.LBB17_880:
	s_mov_b64 s[18:19], -1
                                        ; implicit-def: $vgpr5
	s_branch .LBB17_885
.LBB17_881:
	s_mov_b64 s[18:19], -1
                                        ; implicit-def: $vgpr5
.LBB17_882:
	s_andn2_b64 vcc, exec, s[18:19]
	s_cbranch_vccnz .LBB17_884
; %bb.883:
	global_load_dword v5, v[0:1], off
.LBB17_884:
	s_mov_b64 s[18:19], 0
.LBB17_885:
	s_andn2_b64 vcc, exec, s[18:19]
	s_cbranch_vccnz .LBB17_887
; %bb.886:
	global_load_dword v2, v[0:1], off
	s_waitcnt vmcnt(0)
	v_cvt_f32_f16_e32 v5, v2
.LBB17_887:
	s_cbranch_execnz .LBB17_898
.LBB17_888:
	v_cmp_gt_i16_e32 vcc, 6, v9
	s_cbranch_vccnz .LBB17_891
; %bb.889:
	v_cmp_lt_i16_e32 vcc, 6, v9
	s_cbranch_vccz .LBB17_892
; %bb.890:
	global_load_dwordx2 v[2:3], v[0:1], off
	s_mov_b64 s[18:19], 0
	s_waitcnt vmcnt(0)
	v_cvt_f32_f64_e32 v5, v[2:3]
	s_branch .LBB17_893
.LBB17_891:
	s_mov_b64 s[18:19], -1
                                        ; implicit-def: $vgpr5
	s_branch .LBB17_896
.LBB17_892:
	s_mov_b64 s[18:19], -1
                                        ; implicit-def: $vgpr5
.LBB17_893:
	s_andn2_b64 vcc, exec, s[18:19]
	s_cbranch_vccnz .LBB17_895
; %bb.894:
	global_load_dword v5, v[0:1], off
.LBB17_895:
	s_mov_b64 s[18:19], 0
.LBB17_896:
	s_andn2_b64 vcc, exec, s[18:19]
	s_cbranch_vccnz .LBB17_898
; %bb.897:
	global_load_ushort v2, v[0:1], off
	s_waitcnt vmcnt(0)
	v_cvt_f32_f16_e32 v5, v2
.LBB17_898:
	s_cbranch_execnz .LBB17_917
.LBB17_899:
	v_cmp_gt_i16_e32 vcc, 2, v9
	s_cbranch_vccnz .LBB17_903
; %bb.900:
	v_cmp_gt_i16_e32 vcc, 3, v9
	s_cbranch_vccnz .LBB17_904
; %bb.901:
	v_cmp_lt_i16_e32 vcc, 3, v9
	s_cbranch_vccz .LBB17_905
; %bb.902:
	global_load_dwordx2 v[2:3], v[0:1], off
	s_mov_b64 s[18:19], 0
	s_waitcnt vmcnt(0)
	v_xor_b32_e32 v5, v2, v3
	v_ffbh_i32_e32 v4, v3
	v_ashrrev_i32_e32 v5, 31, v5
	v_add_u32_e32 v4, -1, v4
	v_add_u32_e32 v5, 32, v5
	v_min_u32_e32 v4, v4, v5
	v_lshlrev_b64 v[2:3], v4, v[2:3]
	v_min_u32_e32 v2, 1, v2
	v_or_b32_e32 v2, v3, v2
	v_cvt_f32_i32_e32 v2, v2
	v_sub_u32_e32 v3, 32, v4
	v_ldexp_f32 v5, v2, v3
	s_branch .LBB17_906
.LBB17_903:
                                        ; implicit-def: $vgpr5
	s_branch .LBB17_912
.LBB17_904:
	s_mov_b64 s[18:19], -1
                                        ; implicit-def: $vgpr5
	s_branch .LBB17_909
.LBB17_905:
	s_mov_b64 s[18:19], -1
                                        ; implicit-def: $vgpr5
.LBB17_906:
	s_andn2_b64 vcc, exec, s[18:19]
	s_cbranch_vccnz .LBB17_908
; %bb.907:
	global_load_dword v2, v[0:1], off
	s_waitcnt vmcnt(0)
	v_cvt_f32_i32_e32 v5, v2
.LBB17_908:
	s_mov_b64 s[18:19], 0
.LBB17_909:
	s_andn2_b64 vcc, exec, s[18:19]
	s_cbranch_vccnz .LBB17_911
; %bb.910:
	global_load_sshort v2, v[0:1], off
	s_waitcnt vmcnt(0)
	v_cvt_f32_i32_e32 v5, v2
.LBB17_911:
	s_cbranch_execnz .LBB17_917
.LBB17_912:
	v_cmp_lt_i16_e32 vcc, 0, v9
	s_cbranch_vccz .LBB17_914
; %bb.913:
	global_load_sbyte v2, v[0:1], off
	s_mov_b64 s[18:19], 0
	s_waitcnt vmcnt(0)
	v_cvt_f32_i32_e32 v5, v2
	s_branch .LBB17_915
.LBB17_914:
	s_mov_b64 s[18:19], -1
                                        ; implicit-def: $vgpr5
.LBB17_915:
	s_andn2_b64 vcc, exec, s[18:19]
	s_cbranch_vccnz .LBB17_917
; %bb.916:
	global_load_ubyte v0, v[0:1], off
	s_waitcnt vmcnt(0)
	v_cvt_f32_ubyte0_e32 v5, v0
.LBB17_917:
	s_or_b64 s[0:1], s[0:1], exec
.LBB17_918:
	s_or_b64 exec, exec, s[14:15]
	s_mov_b64 s[20:21], 0
	s_mov_b64 s[18:19], 0
                                        ; implicit-def: $vgpr4
                                        ; implicit-def: $vgpr2_vgpr3
                                        ; implicit-def: $vgpr0
	s_and_saveexec_b64 s[14:15], s[0:1]
	s_cbranch_execz .LBB17_940
; %bb.919:
	s_mov_b32 s0, 0x41000000
	s_waitcnt vmcnt(0)
	v_cmp_le_f32_e64 s[0:1], |v5|, s0
                                        ; implicit-def: $vgpr0
	s_and_saveexec_b64 s[18:19], s[0:1]
	s_xor_b64 s[0:1], exec, s[18:19]
	s_cbranch_execz .LBB17_921
; %bb.920:
	v_fma_f32 v0, |v5|, 0.5, -2.0
	v_mov_b32_e32 v1, 0x24199b15
	v_fmac_f32_e32 v1, 0xa2a2e5b9, v0
	v_mov_b32_e32 v2, 0x22a2e5b9
	v_fmac_f32_e32 v2, v0, v1
	v_add_f32_e32 v2, 0xa58c275c, v2
	v_fma_f32 v1, v0, v2, -v1
	v_add_f32_e32 v1, 0x26f736c5, v1
	v_fma_f32 v2, v0, v1, -v2
	;; [unrolled: 2-line block ×22, first 2 shown]
	v_add_f32_e32 v2, 0xbcc274f8, v2
	s_mov_b32 s18, 0x3fb8aa3b
	v_fma_f32 v1, v0, v2, -v1
	v_mul_f32_e64 v3, |v5|, s18
	v_add_f32_e32 v1, 0x3d49f456, v1
	v_rndne_f32_e32 v4, v3
	v_fma_f32 v2, v0, v1, -v2
	v_sub_f32_e32 v6, v3, v4
	v_fma_f32 v3, |v5|, s18, -v3
	s_mov_b32 s18, 0x32a5705f
	v_add_f32_e32 v2, 0xbdc25b82, v2
	v_fma_f32 v3, |v5|, s18, v3
	v_fma_f32 v1, v0, v2, -v1
	v_add_f32_e32 v3, v6, v3
	v_add_f32_e32 v1, 0x3e2fbd64, v1
	v_exp_f32_e32 v3, v3
	v_cvt_i32_f32_e32 v4, v4
	v_fma_f32 v2, v0, v1, -v2
	v_add_f32_e32 v2, 0xbe9bff5e, v2
	v_fma_f32 v0, v0, v2, -v1
	s_mov_b32 s18, 0xc2ce8ed0
	v_add_f32_e32 v0, 0x3f2d4275, v0
	v_ldexp_f32 v2, v3, v4
	v_cmp_nlt_f32_e64 vcc, |v5|, s18
	s_mov_b32 s18, 0x42b17218
	v_cndmask_b32_e32 v2, 0, v2, vcc
	v_mov_b32_e32 v3, 0x7f800000
	v_cmp_ngt_f32_e64 vcc, |v5|, s18
	v_sub_f32_e32 v0, v0, v1
	v_cndmask_b32_e32 v2, v3, v2, vcc
	v_mul_f32_e32 v0, 0.5, v0
	v_mul_f32_e32 v0, v2, v0
                                        ; implicit-def: $vgpr5
.LBB17_921:
	s_andn2_saveexec_b64 s[18:19], s[0:1]
	s_cbranch_execz .LBB17_923
; %bb.922:
	v_and_b32_e32 v0, 0x7fffffff, v5
	s_mov_b32 s20, 0x42000000
	v_div_scale_f32 v1, s[0:1], v0, v0, s20
	v_rcp_f32_e32 v2, v1
	v_div_scale_f32 v0, vcc, s20, v0, s20
	s_mov_b32 s0, 0x3fb8aa3b
	v_fma_f32 v3, -v1, v2, 1.0
	v_fmac_f32_e32 v2, v3, v2
	v_mul_f32_e32 v3, v0, v2
	v_fma_f32 v4, -v1, v3, v0
	v_fmac_f32_e32 v3, v4, v2
	v_fma_f32 v0, -v1, v3, v0
	v_div_fmas_f32 v0, v0, v2, v3
	v_div_fixup_f32 v0, v0, |v5|, s20
	v_add_f32_e32 v0, -2.0, v0
	v_mov_b32_e32 v1, 0xa2b236d3
	v_fmac_f32_e32 v1, 0xa3056dbb, v0
	v_mov_b32_e32 v2, 0x23056dbb
	v_fmac_f32_e32 v2, v0, v1
	v_add_f32_e32 v2, 0x244df0c1, v2
	v_fma_f32 v1, v0, v2, -v1
	v_add_f32_e32 v1, 0x241f9ee8, v1
	v_fma_f32 v2, v0, v1, -v2
	;; [unrolled: 2-line block ×17, first 2 shown]
	v_add_f32_e32 v1, 0x32c2b494, v1
	v_mul_f32_e64 v3, |v5|, s0
	v_fma_f32 v2, v0, v1, -v2
	v_rndne_f32_e32 v4, v3
	v_add_f32_e32 v2, 0x345c003f, v2
	v_sub_f32_e32 v6, v3, v4
	v_fma_f32 v3, |v5|, s0, -v3
	s_mov_b32 s0, 0x32a5705f
	v_fma_f32 v1, v0, v2, -v1
	v_fma_f32 v3, |v5|, s0, v3
	v_add_f32_e32 v1, 0x3642095e, v1
	v_add_f32_e32 v3, v6, v3
	v_fma_f32 v2, v0, v1, -v2
	v_exp_f32_e32 v3, v3
	v_cvt_i32_f32_e32 v4, v4
	v_add_f32_e32 v2, 0x38907d1c, v2
	v_fma_f32 v1, v0, v2, -v1
	v_add_f32_e32 v1, 0x3b5ccc65, v1
	s_mov_b32 s0, 0xc2ce8ed0
	v_fma_f32 v0, v0, v1, -v2
	v_ldexp_f32 v1, v3, v4
	v_cmp_nlt_f32_e64 vcc, |v5|, s0
	s_mov_b32 s0, 0x42b17218
	v_cndmask_b32_e32 v1, 0, v1, vcc
	v_mov_b32_e32 v3, 0x7f800000
	v_cmp_ngt_f32_e64 vcc, |v5|, s0
	s_mov_b32 s0, 0xf800000
	s_mov_b32 s1, 0x4f800000
	v_cndmask_b32_e32 v1, v3, v1, vcc
	v_mul_f32_e64 v3, |v5|, s1
	v_cmp_lt_f32_e64 vcc, |v5|, s0
	v_cndmask_b32_e64 v3, |v5|, v3, vcc
	v_sqrt_f32_e32 v4, v3
	v_add_f32_e32 v0, 0x3f4df315, v0
	v_sub_f32_e32 v0, v0, v2
	v_mul_f32_e32 v0, 0.5, v0
	v_mul_f32_e32 v0, v1, v0
	v_add_u32_e32 v1, -1, v4
	v_fma_f32 v2, -v1, v4, v3
	v_cmp_ge_f32_e64 s[0:1], 0, v2
	v_add_u32_e32 v2, 1, v4
	v_cndmask_b32_e64 v1, v4, v1, s[0:1]
	v_fma_f32 v4, -v2, v4, v3
	v_cmp_lt_f32_e64 s[0:1], 0, v4
	v_cndmask_b32_e64 v1, v1, v2, s[0:1]
	v_mul_f32_e32 v2, 0x37800000, v1
	v_cndmask_b32_e32 v1, v1, v2, vcc
	v_mov_b32_e32 v2, 0x260
	v_cmp_class_f32_e32 vcc, v3, v2
	v_cndmask_b32_e32 v1, v1, v3, vcc
	v_div_scale_f32 v2, s[0:1], v1, v1, v0
	v_rcp_f32_e32 v3, v2
	v_fma_f32 v4, -v2, v3, 1.0
	v_fmac_f32_e32 v3, v4, v3
	v_div_scale_f32 v4, vcc, v0, v1, v0
	v_mul_f32_e32 v5, v4, v3
	v_fma_f32 v6, -v2, v5, v4
	v_fmac_f32_e32 v5, v6, v3
	v_fma_f32 v2, -v2, v5, v4
	v_div_fmas_f32 v2, v2, v3, v5
	v_div_fixup_f32 v0, v2, v1, v0
.LBB17_923:
	s_or_b64 exec, exec, s[18:19]
	v_mul_lo_u32 v1, v8, s12
	v_ashrrev_i32_e32 v3, 31, v1
	v_mov_b32_e32 v4, s9
	v_add_co_u32_e32 v2, vcc, s8, v1
	v_addc_co_u32_e32 v3, vcc, v4, v3, vcc
	v_and_b32_e32 v4, 0xff, v10
	v_cmp_gt_i16_e32 vcc, 11, v4
	s_cbranch_vccnz .LBB17_943
; %bb.924:
	v_cmp_lt_i16_e32 vcc, 25, v4
	s_mov_b64 s[20:21], -1
	s_mov_b64 s[0:1], s[6:7]
	s_cbranch_vccz .LBB17_961
; %bb.925:
	v_cmp_lt_i16_e32 vcc, 28, v4
	s_mov_b64 s[18:19], -1
	s_mov_b64 s[0:1], s[6:7]
	s_cbranch_vccz .LBB17_945
; %bb.926:
	v_cmp_lt_i16_e32 vcc, 43, v4
	s_mov_b64 s[0:1], s[6:7]
	s_cbranch_vccz .LBB17_937
; %bb.927:
	v_cmp_lt_i16_e32 vcc, 45, v4
	s_mov_b64 s[0:1], s[6:7]
	s_cbranch_vccz .LBB17_931
; %bb.928:
	v_cmp_eq_u16_e32 vcc, 46, v4
	s_mov_b64 s[0:1], -1
	s_cbranch_vccz .LBB17_930
; %bb.929:
	v_bfe_u32 v1, v0, 16, 1
	s_movk_i32 s0, 0x7fff
	v_add3_u32 v1, v0, v1, s0
	v_lshrrev_b32_e32 v1, 16, v1
	v_mov_b32_e32 v5, 0x7fc0
	v_cmp_o_f32_e32 vcc, v0, v0
	v_cndmask_b32_e32 v1, v5, v1, vcc
	global_store_dword v[2:3], v1, off
	s_mov_b64 s[0:1], 0
.LBB17_930:
	s_mov_b64 s[18:19], 0
.LBB17_931:
	s_and_b64 vcc, exec, s[18:19]
	s_cbranch_vccz .LBB17_936
; %bb.932:
	v_cmp_eq_u16_e32 vcc, 44, v4
	s_mov_b64 s[0:1], -1
	s_cbranch_vccz .LBB17_936
; %bb.933:
	v_bfe_u32 v1, v0, 23, 8
	s_movk_i32 s0, 0xff
	v_cmp_ne_u32_e32 vcc, s0, v1
	v_mov_b32_e32 v5, 0xff
	s_and_saveexec_b64 s[18:19], vcc
; %bb.934:
	s_mov_b32 s0, 0x3fffff
	v_and_b32_e32 v6, 0x400000, v0
	v_and_or_b32 v1, v0, s0, v1
	v_cmp_ne_u32_e32 vcc, 0, v6
	v_cmp_ne_u32_e64 s[0:1], 0, v1
	s_and_b64 s[0:1], vcc, s[0:1]
	v_lshrrev_b32_e32 v5, 23, v0
	v_cndmask_b32_e64 v1, 0, 1, s[0:1]
	v_add_u32_e32 v5, v5, v1
; %bb.935:
	s_or_b64 exec, exec, s[18:19]
	s_mov_b64 s[0:1], 0
	global_store_byte v[2:3], v5, off
.LBB17_936:
	s_mov_b64 s[18:19], 0
.LBB17_937:
	s_and_b64 vcc, exec, s[18:19]
	s_cbranch_vccz .LBB17_944
; %bb.938:
	v_cmp_eq_u16_e32 vcc, 29, v4
	s_mov_b64 s[0:1], -1
	s_cbranch_vccz .LBB17_944
; %bb.939:
	v_trunc_f32_e32 v1, v0
	v_mul_f32_e32 v5, 0x2f800000, v1
	v_floor_f32_e32 v5, v5
	v_fmac_f32_e32 v1, 0xcf800000, v5
	v_cvt_u32_f32_e32 v7, v5
	v_cvt_u32_f32_e32 v6, v1
	s_mov_b64 s[0:1], 0
	s_mov_b64 s[18:19], 0
	global_store_dwordx2 v[2:3], v[6:7], off
	s_branch .LBB17_945
.LBB17_940:
	s_or_b64 exec, exec, s[14:15]
	s_and_saveexec_b64 s[0:1], s[6:7]
	s_cbranch_execnz .LBB17_1003
.LBB17_941:
	s_or_b64 exec, exec, s[0:1]
	s_and_saveexec_b64 s[0:1], s[20:21]
	s_xor_b64 s[0:1], exec, s[0:1]
	s_cbranch_execz .LBB17_1004
.LBB17_942:
	v_cmp_neq_f32_e32 vcc, 0, v0
	v_cndmask_b32_e64 v1, 0, 1, vcc
	s_waitcnt vmcnt(0)
	global_store_byte v[2:3], v1, off
	s_or_b64 exec, exec, s[0:1]
	s_and_saveexec_b64 s[0:1], s[18:19]
	s_xor_b64 s[0:1], exec, s[0:1]
	s_cbranch_execz .LBB17_1042
	s_branch .LBB17_1005
.LBB17_943:
	s_mov_b64 s[20:21], 0
	s_mov_b64 s[18:19], -1
	s_mov_b64 s[0:1], s[6:7]
	s_branch .LBB17_1002
.LBB17_944:
	s_mov_b64 s[18:19], 0
.LBB17_945:
	s_and_b64 vcc, exec, s[18:19]
	s_cbranch_vccz .LBB17_960
; %bb.946:
	v_cmp_gt_i16_e32 vcc, 27, v4
	s_mov_b64 s[18:19], -1
	s_cbranch_vccnz .LBB17_952
; %bb.947:
	v_cvt_u32_f32_e32 v1, v0
	v_cmp_lt_i16_e32 vcc, 27, v4
	s_cbranch_vccz .LBB17_949
; %bb.948:
	s_mov_b64 s[18:19], 0
	global_store_dword v[2:3], v1, off
.LBB17_949:
	s_andn2_b64 vcc, exec, s[18:19]
	s_cbranch_vccnz .LBB17_951
; %bb.950:
	global_store_short v[2:3], v1, off
.LBB17_951:
	s_mov_b64 s[18:19], 0
.LBB17_952:
	s_andn2_b64 vcc, exec, s[18:19]
	s_cbranch_vccnz .LBB17_960
; %bb.953:
	v_and_b32_e32 v1, 0x7fffffff, v0
	s_mov_b32 s18, 0x43800000
	v_cmp_gt_u32_e32 vcc, s18, v1
	v_mov_b32_e32 v5, 0x80
	s_and_saveexec_b64 s[18:19], vcc
	s_cbranch_execz .LBB17_959
; %bb.954:
	s_mov_b32 s20, 0x3bffffff
	v_cmp_lt_u32_e32 vcc, s20, v1
	s_mov_b64 s[20:21], 0
                                        ; implicit-def: $vgpr1
	s_and_saveexec_b64 s[22:23], vcc
	s_xor_b64 s[22:23], exec, s[22:23]
	s_cbranch_execz .LBB17_1057
; %bb.955:
	v_bfe_u32 v1, v0, 20, 1
	s_mov_b32 s24, 0x487ffff
	v_add3_u32 v1, v0, v1, s24
	s_mov_b64 s[20:21], exec
	v_lshrrev_b32_e32 v1, 20, v1
	s_or_saveexec_b64 s[22:23], s[22:23]
                                        ; implicit-def: $sgpr24
	s_xor_b64 exec, exec, s[22:23]
	s_cbranch_execnz .LBB17_1058
.LBB17_956:
	s_or_b64 exec, exec, s[22:23]
	v_mov_b32_e32 v5, s24
	s_and_saveexec_b64 s[22:23], s[20:21]
.LBB17_957:
	v_lshrrev_b32_e32 v5, 24, v0
	s_movk_i32 s20, 0x80
	v_and_or_b32 v5, v5, s20, v1
.LBB17_958:
	s_or_b64 exec, exec, s[22:23]
.LBB17_959:
	s_or_b64 exec, exec, s[18:19]
	global_store_byte v[2:3], v5, off
.LBB17_960:
	s_mov_b64 s[20:21], 0
.LBB17_961:
	s_mov_b64 s[18:19], 0
	s_and_b64 vcc, exec, s[20:21]
	s_cbranch_vccz .LBB17_1001
; %bb.962:
	v_cmp_lt_i16_e32 vcc, 22, v4
	s_mov_b64 s[20:21], -1
	s_cbranch_vccz .LBB17_994
; %bb.963:
	v_cmp_gt_i16_e32 vcc, 24, v4
	s_cbranch_vccnz .LBB17_983
; %bb.964:
	v_cmp_lt_i16_e32 vcc, 24, v4
	s_cbranch_vccz .LBB17_972
; %bb.965:
	v_and_b32_e32 v1, 0x7fffffff, v0
	s_mov_b32 s20, 0x47800000
	v_cmp_gt_u32_e32 vcc, s20, v1
	v_mov_b32_e32 v5, 0x80
	s_and_saveexec_b64 s[20:21], vcc
	s_cbranch_execz .LBB17_971
; %bb.966:
	s_mov_b32 s22, 0x37ffffff
	v_cmp_lt_u32_e32 vcc, s22, v1
	s_mov_b64 s[22:23], 0
                                        ; implicit-def: $vgpr1
	s_and_saveexec_b64 s[24:25], vcc
	s_xor_b64 s[24:25], exec, s[24:25]
	s_cbranch_execz .LBB17_1186
; %bb.967:
	v_bfe_u32 v1, v0, 21, 1
	s_mov_b32 s26, 0x88fffff
	v_add3_u32 v1, v0, v1, s26
	s_mov_b64 s[22:23], exec
	v_lshrrev_b32_e32 v1, 21, v1
	s_or_saveexec_b64 s[24:25], s[24:25]
                                        ; implicit-def: $sgpr26
	s_xor_b64 exec, exec, s[24:25]
	s_cbranch_execnz .LBB17_1187
.LBB17_968:
	s_or_b64 exec, exec, s[24:25]
	v_mov_b32_e32 v5, s26
	s_and_saveexec_b64 s[24:25], s[22:23]
.LBB17_969:
	v_lshrrev_b32_e32 v5, 24, v0
	s_movk_i32 s22, 0x80
	v_and_or_b32 v5, v5, s22, v1
.LBB17_970:
	s_or_b64 exec, exec, s[24:25]
.LBB17_971:
	s_or_b64 exec, exec, s[20:21]
	s_mov_b64 s[20:21], 0
	global_store_byte v[2:3], v5, off
.LBB17_972:
	s_and_b64 vcc, exec, s[20:21]
	s_cbranch_vccz .LBB17_982
; %bb.973:
	v_and_b32_e32 v5, 0x7fffffff, v0
	s_mov_b32 s20, 0x43f00000
	v_cmp_gt_u32_e32 vcc, s20, v5
                                        ; implicit-def: $vgpr1
	s_and_saveexec_b64 s[20:21], vcc
	s_xor_b64 s[20:21], exec, s[20:21]
	s_cbranch_execz .LBB17_979
; %bb.974:
	s_mov_b32 s22, 0x3c7fffff
	v_cmp_lt_u32_e32 vcc, s22, v5
                                        ; implicit-def: $vgpr1
	s_and_saveexec_b64 s[22:23], vcc
	s_xor_b64 s[22:23], exec, s[22:23]
; %bb.975:
	v_bfe_u32 v1, v0, 20, 1
	s_mov_b32 s24, 0x407ffff
	v_add3_u32 v1, v0, v1, s24
	v_lshrrev_b32_e32 v5, 20, v1
	v_and_b32_e32 v1, 0xff00000, v1
	s_mov_b32 s24, 0x7f00000
	v_mov_b32_e32 v6, 0x7e
	v_cmp_ne_u32_e32 vcc, s24, v1
	v_cndmask_b32_e32 v1, v6, v5, vcc
; %bb.976:
	s_andn2_saveexec_b64 s[22:23], s[22:23]
; %bb.977:
	s_mov_b32 s24, 0x46800000
	v_add_f32_e64 v1, |v0|, s24
; %bb.978:
	s_or_b64 exec, exec, s[22:23]
                                        ; implicit-def: $vgpr5
.LBB17_979:
	s_andn2_saveexec_b64 s[20:21], s[20:21]
; %bb.980:
	s_mov_b32 s22, 0x7f800000
	v_mov_b32_e32 v1, 0x7e
	v_mov_b32_e32 v6, 0x7f
	v_cmp_lt_u32_e32 vcc, s22, v5
	v_cndmask_b32_e32 v1, v1, v6, vcc
; %bb.981:
	s_or_b64 exec, exec, s[20:21]
	v_lshrrev_b32_e32 v5, 24, v0
	s_movk_i32 s20, 0x80
	v_and_or_b32 v1, v5, s20, v1
	global_store_byte v[2:3], v1, off
.LBB17_982:
	s_mov_b64 s[20:21], 0
.LBB17_983:
	s_andn2_b64 vcc, exec, s[20:21]
	s_cbranch_vccnz .LBB17_993
; %bb.984:
	v_and_b32_e32 v5, 0x7fffffff, v0
	s_mov_b32 s20, 0x47800000
	v_cmp_gt_u32_e32 vcc, s20, v5
                                        ; implicit-def: $vgpr1
	s_and_saveexec_b64 s[20:21], vcc
	s_xor_b64 s[20:21], exec, s[20:21]
	s_cbranch_execz .LBB17_990
; %bb.985:
	s_mov_b32 s22, 0x387fffff
	v_cmp_lt_u32_e32 vcc, s22, v5
                                        ; implicit-def: $vgpr1
	s_and_saveexec_b64 s[22:23], vcc
	s_xor_b64 s[22:23], exec, s[22:23]
; %bb.986:
	v_bfe_u32 v1, v0, 21, 1
	s_mov_b32 s24, 0x80fffff
	v_add3_u32 v1, v0, v1, s24
	v_lshrrev_b32_e32 v1, 21, v1
; %bb.987:
	s_andn2_saveexec_b64 s[22:23], s[22:23]
; %bb.988:
	s_mov_b32 s24, 0x43000000
	v_add_f32_e64 v1, |v0|, s24
; %bb.989:
	s_or_b64 exec, exec, s[22:23]
                                        ; implicit-def: $vgpr5
.LBB17_990:
	s_andn2_saveexec_b64 s[20:21], s[20:21]
; %bb.991:
	s_mov_b32 s22, 0x7f800000
	v_mov_b32_e32 v1, 0x7c
	v_mov_b32_e32 v6, 0x7f
	v_cmp_lt_u32_e32 vcc, s22, v5
	v_cndmask_b32_e32 v1, v1, v6, vcc
; %bb.992:
	s_or_b64 exec, exec, s[20:21]
	v_lshrrev_b32_e32 v5, 24, v0
	s_movk_i32 s20, 0x80
	v_and_or_b32 v1, v5, s20, v1
	global_store_byte v[2:3], v1, off
.LBB17_993:
	s_mov_b64 s[20:21], 0
.LBB17_994:
	s_andn2_b64 vcc, exec, s[20:21]
	s_mov_b64 s[20:21], 0
	s_cbranch_vccnz .LBB17_1002
; %bb.995:
	v_cmp_lt_i16_e32 vcc, 14, v4
	s_mov_b64 s[22:23], -1
	s_cbranch_vccz .LBB17_999
; %bb.996:
	v_cmp_eq_u16_e32 vcc, 15, v4
	s_mov_b64 s[0:1], -1
	s_cbranch_vccz .LBB17_998
; %bb.997:
	v_bfe_u32 v1, v0, 16, 1
	s_movk_i32 s0, 0x7fff
	v_add3_u32 v1, v0, v1, s0
	v_lshrrev_b32_e32 v1, 16, v1
	v_mov_b32_e32 v5, 0x7fc0
	v_cmp_o_f32_e32 vcc, v0, v0
	v_cndmask_b32_e32 v1, v5, v1, vcc
	global_store_short v[2:3], v1, off
	s_mov_b64 s[0:1], 0
.LBB17_998:
	s_mov_b64 s[22:23], 0
.LBB17_999:
	s_and_b64 vcc, exec, s[22:23]
	s_cbranch_vccz .LBB17_1002
; %bb.1000:
	v_cmp_ne_u16_e32 vcc, 11, v4
	s_andn2_b64 s[0:1], s[0:1], exec
	s_and_b64 s[22:23], vcc, exec
	s_mov_b64 s[20:21], -1
	s_or_b64 s[0:1], s[0:1], s[22:23]
	s_branch .LBB17_1002
.LBB17_1001:
	s_mov_b64 s[20:21], 0
.LBB17_1002:
	s_andn2_b64 s[6:7], s[6:7], exec
	s_and_b64 s[0:1], s[0:1], exec
	s_and_b64 s[18:19], s[18:19], exec
	;; [unrolled: 1-line block ×3, first 2 shown]
	s_or_b64 s[6:7], s[6:7], s[0:1]
	s_or_b64 exec, exec, s[14:15]
	s_and_saveexec_b64 s[0:1], s[6:7]
	s_cbranch_execz .LBB17_941
.LBB17_1003:
	s_or_b64 s[16:17], s[16:17], exec
	s_andn2_b64 s[20:21], s[20:21], exec
	s_trap 2
	s_or_b64 exec, exec, s[0:1]
	s_and_saveexec_b64 s[0:1], s[20:21]
	s_xor_b64 s[0:1], exec, s[0:1]
	s_cbranch_execnz .LBB17_942
.LBB17_1004:
	s_or_b64 exec, exec, s[0:1]
	s_and_saveexec_b64 s[0:1], s[18:19]
	s_xor_b64 s[0:1], exec, s[0:1]
	s_cbranch_execz .LBB17_1042
.LBB17_1005:
	v_cmp_gt_i16_e32 vcc, 5, v4
	s_mov_b64 s[6:7], -1
	s_cbranch_vccnz .LBB17_1026
; %bb.1006:
	v_cmp_gt_i16_e32 vcc, 8, v4
	s_cbranch_vccnz .LBB17_1016
; %bb.1007:
	v_cmp_gt_i16_e32 vcc, 9, v4
	s_cbranch_vccnz .LBB17_1013
; %bb.1008:
	v_cmp_lt_i16_e32 vcc, 9, v4
	s_cbranch_vccz .LBB17_1010
; %bb.1009:
	v_mov_b32_e32 v8, 0
	v_cvt_f64_f32_e32 v[6:7], v0
	v_mov_b32_e32 v9, v8
	s_mov_b64 s[6:7], 0
	s_waitcnt vmcnt(0)
	global_store_dwordx4 v[2:3], v[6:9], off
.LBB17_1010:
	s_andn2_b64 vcc, exec, s[6:7]
	s_cbranch_vccnz .LBB17_1012
; %bb.1011:
	v_mov_b32_e32 v1, 0
	s_waitcnt vmcnt(0)
	global_store_dwordx2 v[2:3], v[0:1], off
.LBB17_1012:
	s_mov_b64 s[6:7], 0
.LBB17_1013:
	s_andn2_b64 vcc, exec, s[6:7]
	s_cbranch_vccnz .LBB17_1015
; %bb.1014:
	v_cvt_f16_f32_e32 v1, v0
	s_waitcnt vmcnt(0)
	global_store_dword v[2:3], v1, off
.LBB17_1015:
	s_mov_b64 s[6:7], 0
.LBB17_1016:
	s_andn2_b64 vcc, exec, s[6:7]
	s_cbranch_vccnz .LBB17_1025
; %bb.1017:
	v_cmp_gt_i16_e32 vcc, 6, v4
	s_mov_b64 s[6:7], -1
	s_cbranch_vccnz .LBB17_1023
; %bb.1018:
	v_cmp_lt_i16_e32 vcc, 6, v4
	s_cbranch_vccz .LBB17_1020
; %bb.1019:
	v_cvt_f64_f32_e32 v[6:7], v0
	s_mov_b64 s[6:7], 0
	s_waitcnt vmcnt(0)
	global_store_dwordx2 v[2:3], v[6:7], off
.LBB17_1020:
	s_andn2_b64 vcc, exec, s[6:7]
	s_cbranch_vccnz .LBB17_1022
; %bb.1021:
	s_waitcnt vmcnt(0)
	global_store_dword v[2:3], v0, off
.LBB17_1022:
	s_mov_b64 s[6:7], 0
.LBB17_1023:
	s_andn2_b64 vcc, exec, s[6:7]
	s_cbranch_vccnz .LBB17_1025
; %bb.1024:
	v_cvt_f16_f32_e32 v1, v0
	s_waitcnt vmcnt(0)
	global_store_short v[2:3], v1, off
.LBB17_1025:
	s_mov_b64 s[6:7], 0
.LBB17_1026:
	s_andn2_b64 vcc, exec, s[6:7]
	s_cbranch_vccnz .LBB17_1042
; %bb.1027:
	v_cmp_gt_i16_e32 vcc, 2, v4
	s_mov_b64 s[6:7], -1
	s_cbranch_vccnz .LBB17_1037
; %bb.1028:
	v_cmp_gt_i16_e32 vcc, 3, v4
	s_cbranch_vccnz .LBB17_1034
; %bb.1029:
	v_cmp_lt_i16_e32 vcc, 3, v4
	s_cbranch_vccz .LBB17_1031
; %bb.1030:
	v_trunc_f32_e32 v1, v0
	s_mov_b32 s6, 0x2f800000
	s_waitcnt vmcnt(0)
	v_mul_f32_e64 v5, |v1|, s6
	v_floor_f32_e32 v5, v5
	s_mov_b32 s6, 0xcf800000
	v_cvt_u32_f32_e32 v6, v5
	v_fma_f32 v5, v5, s6, |v1|
	v_cvt_u32_f32_e32 v5, v5
	v_ashrrev_i32_e32 v1, 31, v1
	v_xor_b32_e32 v7, v6, v1
	s_mov_b64 s[6:7], 0
	v_xor_b32_e32 v5, v5, v1
	v_sub_co_u32_e32 v6, vcc, v5, v1
	v_subb_co_u32_e32 v7, vcc, v7, v1, vcc
	global_store_dwordx2 v[2:3], v[6:7], off
.LBB17_1031:
	s_andn2_b64 vcc, exec, s[6:7]
	s_cbranch_vccnz .LBB17_1033
; %bb.1032:
	v_cvt_i32_f32_e32 v1, v0
	s_waitcnt vmcnt(0)
	global_store_dword v[2:3], v1, off
.LBB17_1033:
	s_mov_b64 s[6:7], 0
.LBB17_1034:
	s_andn2_b64 vcc, exec, s[6:7]
	s_cbranch_vccnz .LBB17_1036
; %bb.1035:
	v_cvt_i32_f32_e32 v1, v0
	s_waitcnt vmcnt(0)
	global_store_short v[2:3], v1, off
.LBB17_1036:
	s_mov_b64 s[6:7], 0
.LBB17_1037:
	s_andn2_b64 vcc, exec, s[6:7]
	s_cbranch_vccnz .LBB17_1042
; %bb.1038:
	v_cmp_lt_i16_e32 vcc, 0, v4
	s_mov_b64 s[6:7], -1
	s_cbranch_vccz .LBB17_1040
; %bb.1039:
	v_cvt_i32_f32_e32 v1, v0
	s_mov_b64 s[6:7], 0
	s_waitcnt vmcnt(0)
	global_store_byte v[2:3], v1, off
.LBB17_1040:
	s_andn2_b64 vcc, exec, s[6:7]
	s_cbranch_vccnz .LBB17_1042
; %bb.1041:
	v_trunc_f32_e32 v0, v0
	s_mov_b32 s6, 0x2f800000
	v_mul_f32_e64 v1, |v0|, s6
	v_floor_f32_e32 v1, v1
	s_mov_b32 s6, 0xcf800000
	v_fma_f32 v1, v1, s6, |v0|
	v_cvt_u32_f32_e32 v1, v1
	v_ashrrev_i32_e32 v0, 31, v0
	v_xor_b32_e32 v1, v1, v0
	v_sub_u32_e32 v0, v1, v0
	s_waitcnt vmcnt(0)
	global_store_byte v[2:3], v0, off
.LBB17_1042:
	s_or_b64 exec, exec, s[0:1]
	s_and_b64 s[6:7], s[16:17], exec
                                        ; implicit-def: $vgpr8
                                        ; implicit-def: $vgpr9
                                        ; implicit-def: $vgpr10
.LBB17_1043:
	s_or_saveexec_b64 s[4:5], s[4:5]
	s_mov_b64 s[0:1], 0
                                        ; implicit-def: $vgpr2
                                        ; implicit-def: $vgpr0_vgpr1
                                        ; implicit-def: $vgpr6
	s_xor_b64 exec, exec, s[4:5]
	s_cbranch_execz .LBB17_1582
; %bb.1044:
	s_waitcnt vmcnt(0)
	v_mul_lo_u32 v2, s13, v8
	v_ashrrev_i32_e32 v1, 31, v2
	v_mov_b32_e32 v3, s11
	v_add_co_u32_e32 v0, vcc, s10, v2
	v_addc_co_u32_e32 v1, vcc, v3, v1, vcc
	v_cmp_gt_i16_e64 s[0:1], 11, v9
	s_and_b64 vcc, exec, s[0:1]
	s_cbranch_vccnz .LBB17_1051
; %bb.1045:
	v_cmp_lt_i16_e32 vcc, 25, v9
	s_mov_b64 s[16:17], 0
	s_cbranch_vccz .LBB17_1053
; %bb.1046:
	v_cmp_lt_i16_e32 vcc, 28, v9
	s_cbranch_vccz .LBB17_1054
; %bb.1047:
	v_cmp_lt_i16_e32 vcc, 43, v9
	;; [unrolled: 3-line block ×3, first 2 shown]
	s_cbranch_vccz .LBB17_1056
; %bb.1049:
	v_cmp_eq_u16_e32 vcc, 46, v9
	s_mov_b64 s[14:15], 0
	s_cbranch_vccz .LBB17_1059
; %bb.1050:
	global_load_dword v3, v[0:1], off
	s_mov_b64 s[18:19], -1
	s_waitcnt vmcnt(0)
	v_lshlrev_b32_e32 v3, 16, v3
	s_branch .LBB17_1060
.LBB17_1051:
	s_mov_b64 s[18:19], 0
                                        ; implicit-def: $vgpr3
	s_mov_b64 s[14:15], s[6:7]
	s_cbranch_execnz .LBB17_1123
.LBB17_1052:
	s_andn2_b64 vcc, exec, s[18:19]
	s_cbranch_vccz .LBB17_1168
	s_branch .LBB17_1579
.LBB17_1053:
	s_mov_b64 s[18:19], 0
                                        ; implicit-def: $vgpr3
	s_cbranch_execnz .LBB17_1088
	s_branch .LBB17_1119
.LBB17_1054:
	s_mov_b64 s[14:15], -1
	s_mov_b64 s[18:19], 0
                                        ; implicit-def: $vgpr3
	s_branch .LBB17_1069
.LBB17_1055:
	s_mov_b64 s[18:19], 0
                                        ; implicit-def: $vgpr3
	s_cbranch_execnz .LBB17_1065
	s_branch .LBB17_1068
.LBB17_1056:
	s_mov_b64 s[14:15], -1
	s_mov_b64 s[18:19], 0
                                        ; implicit-def: $vgpr3
	s_branch .LBB17_1060
.LBB17_1057:
	s_or_saveexec_b64 s[22:23], s[22:23]
                                        ; implicit-def: $sgpr24
	s_xor_b64 exec, exec, s[22:23]
	s_cbranch_execz .LBB17_956
.LBB17_1058:
	s_mov_b32 s24, 0x46000000
	v_add_f32_e64 v1, |v0|, s24
	v_and_b32_e32 v1, 0xff, v1
	v_cmp_ne_u32_e32 vcc, 0, v1
	s_andn2_b64 s[20:21], s[20:21], exec
	s_and_b64 s[26:27], vcc, exec
	s_mov_b32 s24, 0
	s_or_b64 s[20:21], s[20:21], s[26:27]
	s_or_b64 exec, exec, s[22:23]
	v_mov_b32_e32 v5, s24
	s_and_saveexec_b64 s[22:23], s[20:21]
	s_cbranch_execnz .LBB17_957
	s_branch .LBB17_958
.LBB17_1059:
	s_mov_b64 s[2:3], -1
                                        ; implicit-def: $vgpr3
	s_mov_b64 s[18:19], 0
.LBB17_1060:
	s_and_b64 vcc, exec, s[14:15]
	s_cbranch_vccz .LBB17_1063
; %bb.1061:
	v_cmp_eq_u16_e32 vcc, 44, v9
	s_cbranch_vccz .LBB17_1064
; %bb.1062:
	global_load_ubyte v3, v[0:1], off
	s_movk_i32 s14, 0xff
	v_mov_b32_e32 v4, 0x7f800001
	v_mov_b32_e32 v5, 0x400000
	s_mov_b64 s[2:3], 0
	s_mov_b64 s[18:19], -1
	s_waitcnt vmcnt(0)
	v_lshlrev_b32_e32 v6, 23, v3
	v_cmp_ne_u32_e32 vcc, s14, v3
	v_cndmask_b32_e32 v4, v4, v6, vcc
	v_cmp_ne_u32_e32 vcc, 0, v3
	v_cndmask_b32_e32 v3, v5, v4, vcc
.LBB17_1063:
	s_branch .LBB17_1068
.LBB17_1064:
	s_mov_b64 s[2:3], -1
                                        ; implicit-def: $vgpr3
	s_branch .LBB17_1068
.LBB17_1065:
	v_cmp_eq_u16_e32 vcc, 29, v9
	s_cbranch_vccz .LBB17_1067
; %bb.1066:
	global_load_dwordx2 v[4:5], v[0:1], off
	s_mov_b64 s[2:3], 0
	s_mov_b64 s[18:19], -1
	s_mov_b64 s[14:15], 0
	s_waitcnt vmcnt(0)
	v_ffbh_u32_e32 v3, v5
	v_min_u32_e32 v3, 32, v3
	v_lshlrev_b64 v[4:5], v3, v[4:5]
	v_min_u32_e32 v4, 1, v4
	v_or_b32_e32 v4, v5, v4
	v_cvt_f32_u32_e32 v4, v4
	v_sub_u32_e32 v3, 32, v3
	v_ldexp_f32 v3, v4, v3
	s_branch .LBB17_1069
.LBB17_1067:
	s_mov_b64 s[2:3], -1
                                        ; implicit-def: $vgpr3
.LBB17_1068:
	s_mov_b64 s[14:15], 0
.LBB17_1069:
	s_and_b64 vcc, exec, s[14:15]
	s_cbranch_vccz .LBB17_1087
; %bb.1070:
	v_cmp_gt_i16_e32 vcc, 27, v9
	s_cbranch_vccnz .LBB17_1073
; %bb.1071:
	v_cmp_lt_i16_e32 vcc, 27, v9
	s_cbranch_vccz .LBB17_1074
; %bb.1072:
	global_load_dword v3, v[0:1], off
	s_mov_b64 s[14:15], 0
	s_waitcnt vmcnt(0)
	v_cvt_f32_u32_e32 v3, v3
	s_branch .LBB17_1075
.LBB17_1073:
	s_mov_b64 s[14:15], -1
                                        ; implicit-def: $vgpr3
	s_branch .LBB17_1078
.LBB17_1074:
	s_mov_b64 s[14:15], -1
                                        ; implicit-def: $vgpr3
.LBB17_1075:
	s_andn2_b64 vcc, exec, s[14:15]
	s_cbranch_vccnz .LBB17_1077
; %bb.1076:
	global_load_ushort v3, v[0:1], off
	s_waitcnt vmcnt(0)
	v_cvt_f32_u32_e32 v3, v3
.LBB17_1077:
	s_mov_b64 s[14:15], 0
.LBB17_1078:
	s_andn2_b64 vcc, exec, s[14:15]
	s_cbranch_vccnz .LBB17_1086
; %bb.1079:
	global_load_ubyte v4, v[0:1], off
	s_movk_i32 s14, 0x7f
                                        ; implicit-def: $sgpr22
	s_waitcnt vmcnt(0)
	v_cmp_lt_i16_e32 vcc, s14, v4
	s_mov_b64 s[14:15], 0
	s_and_saveexec_b64 s[18:19], vcc
	s_xor_b64 s[18:19], exec, s[18:19]
	s_cbranch_execz .LBB17_1099
; %bb.1080:
	s_movk_i32 s14, 0x80
	v_cmp_eq_u16_e32 vcc, s14, v4
	s_mov_b64 s[14:15], -1
                                        ; implicit-def: $sgpr22
	s_and_saveexec_b64 s[20:21], vcc
; %bb.1081:
	s_mov_b32 s22, 0x7f800001
	s_xor_b64 s[14:15], exec, -1
; %bb.1082:
	s_or_b64 exec, exec, s[20:21]
	s_and_b64 s[14:15], s[14:15], exec
	s_or_saveexec_b64 s[18:19], s[18:19]
	v_mov_b32_e32 v3, s22
	s_xor_b64 exec, exec, s[18:19]
	s_cbranch_execnz .LBB17_1100
.LBB17_1083:
	s_or_b64 exec, exec, s[18:19]
	s_and_saveexec_b64 s[18:19], s[14:15]
	s_cbranch_execz .LBB17_1085
.LBB17_1084:
	v_lshlrev_b32_e32 v3, 24, v4
	v_and_b32_e32 v4, 0xffff, v4
	v_and_b32_e32 v5, 7, v4
	v_ffbh_u32_e32 v7, v5
	v_min_u32_e32 v7, 32, v7
	v_subrev_u32_e32 v11, 28, v7
	v_bfe_u32 v6, v4, 3, 4
	v_lshlrev_b32_e32 v4, v11, v4
	v_sub_u32_e32 v7, 29, v7
	v_and_b32_e32 v4, 7, v4
	v_cmp_eq_u32_e32 vcc, 0, v6
	v_cndmask_b32_e32 v6, v6, v7, vcc
	v_cndmask_b32_e32 v4, v5, v4, vcc
	v_mov_b32_e32 v5, 0x3b800000
	v_lshlrev_b32_e32 v4, 20, v4
	v_and_b32_e32 v3, 0x80000000, v3
	v_lshl_add_u32 v5, v6, 23, v5
	v_or3_b32 v3, v3, v5, v4
.LBB17_1085:
	s_or_b64 exec, exec, s[18:19]
.LBB17_1086:
	s_mov_b64 s[18:19], -1
.LBB17_1087:
	s_branch .LBB17_1119
.LBB17_1088:
	v_cmp_lt_i16_e32 vcc, 22, v9
	s_cbranch_vccz .LBB17_1098
; %bb.1089:
	v_cmp_gt_i16_e32 vcc, 24, v9
	s_cbranch_vccnz .LBB17_1101
; %bb.1090:
	v_cmp_lt_i16_e32 vcc, 24, v9
	s_cbranch_vccz .LBB17_1102
; %bb.1091:
	global_load_ubyte v4, v[0:1], off
	s_movk_i32 s14, 0x7f
                                        ; implicit-def: $sgpr20
	s_waitcnt vmcnt(0)
	v_cmp_lt_i16_e32 vcc, s14, v4
	s_mov_b64 s[14:15], 0
	s_and_saveexec_b64 s[16:17], vcc
	s_xor_b64 s[16:17], exec, s[16:17]
	s_cbranch_execz .LBB17_1113
; %bb.1092:
	s_movk_i32 s14, 0x80
	v_cmp_eq_u16_e32 vcc, s14, v4
	s_mov_b64 s[14:15], -1
                                        ; implicit-def: $sgpr20
	s_and_saveexec_b64 s[18:19], vcc
; %bb.1093:
	s_mov_b32 s20, 0x7f800001
	s_xor_b64 s[14:15], exec, -1
; %bb.1094:
	s_or_b64 exec, exec, s[18:19]
	s_and_b64 s[14:15], s[14:15], exec
	s_or_saveexec_b64 s[16:17], s[16:17]
	v_mov_b32_e32 v3, s20
	s_xor_b64 exec, exec, s[16:17]
	s_cbranch_execnz .LBB17_1114
.LBB17_1095:
	s_or_b64 exec, exec, s[16:17]
	s_and_saveexec_b64 s[16:17], s[14:15]
	s_cbranch_execz .LBB17_1097
.LBB17_1096:
	v_lshlrev_b32_e32 v3, 24, v4
	v_and_b32_e32 v4, 0xffff, v4
	v_and_b32_e32 v5, 3, v4
	v_ffbh_u32_e32 v7, v5
	v_min_u32_e32 v7, 32, v7
	v_subrev_u32_e32 v11, 29, v7
	v_bfe_u32 v6, v4, 2, 5
	v_lshlrev_b32_e32 v4, v11, v4
	v_sub_u32_e32 v7, 30, v7
	v_and_b32_e32 v4, 3, v4
	v_cmp_eq_u32_e32 vcc, 0, v6
	v_cndmask_b32_e32 v6, v6, v7, vcc
	v_cndmask_b32_e32 v4, v5, v4, vcc
	v_mov_b32_e32 v5, 0x37800000
	v_lshlrev_b32_e32 v4, 21, v4
	v_and_b32_e32 v3, 0x80000000, v3
	v_lshl_add_u32 v5, v6, 23, v5
	v_or3_b32 v3, v3, v5, v4
.LBB17_1097:
	s_or_b64 exec, exec, s[16:17]
	s_mov_b64 s[14:15], 0
	s_branch .LBB17_1103
.LBB17_1098:
                                        ; implicit-def: $vgpr3
	s_mov_b64 s[16:17], 0
	s_branch .LBB17_1109
.LBB17_1099:
	s_or_saveexec_b64 s[18:19], s[18:19]
	v_mov_b32_e32 v3, s22
	s_xor_b64 exec, exec, s[18:19]
	s_cbranch_execz .LBB17_1083
.LBB17_1100:
	v_cmp_ne_u16_e32 vcc, 0, v4
	s_andn2_b64 s[14:15], s[14:15], exec
	s_and_b64 s[20:21], vcc, exec
	v_mov_b32_e32 v3, 0
	s_or_b64 s[14:15], s[14:15], s[20:21]
	s_or_b64 exec, exec, s[18:19]
	s_and_saveexec_b64 s[18:19], s[14:15]
	s_cbranch_execnz .LBB17_1084
	s_branch .LBB17_1085
.LBB17_1101:
	s_mov_b64 s[14:15], -1
                                        ; implicit-def: $vgpr3
	s_branch .LBB17_1106
.LBB17_1102:
	s_mov_b64 s[14:15], -1
                                        ; implicit-def: $vgpr3
.LBB17_1103:
	s_and_b64 vcc, exec, s[14:15]
	s_cbranch_vccz .LBB17_1105
; %bb.1104:
	global_load_ubyte v3, v[0:1], off
	s_mov_b32 s14, 0x7f800000
	s_waitcnt vmcnt(0)
	v_lshlrev_b32_e32 v3, 24, v3
	v_and_b32_e32 v4, 0x7f000000, v3
	v_ffbh_u32_e32 v5, v4
	v_min_u32_e32 v5, 32, v5
	v_sub_u32_e64 v5, v5, 4 clamp
	v_lshlrev_b32_e32 v7, v5, v4
	v_lshlrev_b32_e32 v5, 23, v5
	v_lshrrev_b32_e32 v7, 4, v7
	v_add_u32_e32 v6, 0x1000000, v4
	v_sub_u32_e32 v5, v7, v5
	v_ashrrev_i32_e32 v6, 8, v6
	v_add_u32_e32 v5, 0x3c000000, v5
	v_and_or_b32 v5, v6, s14, v5
	v_cmp_ne_u32_e32 vcc, 0, v4
	v_cndmask_b32_e32 v4, 0, v5, vcc
	s_brev_b32 s14, 1
	v_and_or_b32 v3, v3, s14, v4
.LBB17_1105:
	s_mov_b64 s[14:15], 0
.LBB17_1106:
	s_andn2_b64 vcc, exec, s[14:15]
	s_cbranch_vccnz .LBB17_1108
; %bb.1107:
	global_load_ubyte v3, v[0:1], off
	s_movk_i32 s14, 0x7f00
	s_brev_b32 s15, 16
	s_waitcnt vmcnt(0)
	v_lshlrev_b16_e32 v4, 8, v3
	v_lshlrev_b32_e32 v3, 25, v3
	v_lshrrev_b32_e32 v5, 4, v3
	v_and_or_b32 v6, v4, s14, 0.5
	v_or_b32_e32 v5, 0x70000000, v5
	v_add_f32_e32 v6, -0.5, v6
	v_mul_f32_e32 v5, 0x7800000, v5
	v_cmp_gt_u32_e32 vcc, s15, v3
	v_bfe_i32 v4, v4, 0, 16
	v_cndmask_b32_e32 v3, v5, v6, vcc
	s_brev_b32 s14, 1
	v_and_or_b32 v3, v4, s14, v3
.LBB17_1108:
	s_mov_b64 s[18:19], -1
	s_mov_b64 s[16:17], 0
	s_cbranch_execnz .LBB17_1119
.LBB17_1109:
	v_cmp_lt_i16_e32 vcc, 14, v9
	s_cbranch_vccz .LBB17_1112
; %bb.1110:
	v_cmp_eq_u16_e32 vcc, 15, v9
	s_cbranch_vccz .LBB17_1115
; %bb.1111:
	global_load_ushort v3, v[0:1], off
	s_mov_b64 s[2:3], 0
	s_mov_b64 s[18:19], -1
	s_waitcnt vmcnt(0)
	v_lshlrev_b32_e32 v3, 16, v3
	s_branch .LBB17_1116
.LBB17_1112:
	s_mov_b64 s[14:15], -1
                                        ; implicit-def: $vgpr3
	s_branch .LBB17_1117
.LBB17_1113:
	s_or_saveexec_b64 s[16:17], s[16:17]
	v_mov_b32_e32 v3, s20
	s_xor_b64 exec, exec, s[16:17]
	s_cbranch_execz .LBB17_1095
.LBB17_1114:
	v_cmp_ne_u16_e32 vcc, 0, v4
	s_andn2_b64 s[14:15], s[14:15], exec
	s_and_b64 s[18:19], vcc, exec
	v_mov_b32_e32 v3, 0
	s_or_b64 s[14:15], s[14:15], s[18:19]
	s_or_b64 exec, exec, s[16:17]
	s_and_saveexec_b64 s[16:17], s[14:15]
	s_cbranch_execnz .LBB17_1096
	s_branch .LBB17_1097
.LBB17_1115:
	s_mov_b64 s[2:3], -1
                                        ; implicit-def: $vgpr3
.LBB17_1116:
	s_mov_b64 s[14:15], 0
.LBB17_1117:
	s_and_b64 vcc, exec, s[14:15]
	s_cbranch_vccz .LBB17_1119
; %bb.1118:
	v_cmp_ne_u16_e64 s[2:3], 11, v9
	s_mov_b64 s[16:17], -1
                                        ; implicit-def: $vgpr3
.LBB17_1119:
	s_and_b64 vcc, exec, s[2:3]
	s_mov_b64 s[14:15], s[6:7]
	s_cbranch_vccnz .LBB17_1184
; %bb.1120:
	s_andn2_b64 vcc, exec, s[16:17]
	s_cbranch_vccnz .LBB17_1122
.LBB17_1121:
	global_load_ubyte v3, v[0:1], off
	s_mov_b64 s[18:19], -1
	s_waitcnt vmcnt(0)
	v_cmp_ne_u16_e32 vcc, 0, v3
	v_cndmask_b32_e64 v3, 0, 1.0, vcc
.LBB17_1122:
	s_branch .LBB17_1052
.LBB17_1123:
	v_cmp_gt_i16_e32 vcc, 5, v9
	s_cbranch_vccnz .LBB17_1128
; %bb.1124:
	v_cmp_gt_i16_e32 vcc, 8, v9
	s_cbranch_vccnz .LBB17_1129
; %bb.1125:
	;; [unrolled: 3-line block ×3, first 2 shown]
	v_cmp_lt_i16_e32 vcc, 9, v9
	s_cbranch_vccz .LBB17_1131
; %bb.1127:
	global_load_dwordx2 v[4:5], v[0:1], off
	s_mov_b64 s[2:3], 0
	s_waitcnt vmcnt(0)
	v_cvt_f32_f64_e32 v3, v[4:5]
	s_branch .LBB17_1132
.LBB17_1128:
                                        ; implicit-def: $vgpr3
	s_branch .LBB17_1149
.LBB17_1129:
                                        ; implicit-def: $vgpr3
	s_branch .LBB17_1138
.LBB17_1130:
	s_mov_b64 s[2:3], -1
                                        ; implicit-def: $vgpr3
	s_branch .LBB17_1135
.LBB17_1131:
	s_mov_b64 s[2:3], -1
                                        ; implicit-def: $vgpr3
.LBB17_1132:
	s_andn2_b64 vcc, exec, s[2:3]
	s_cbranch_vccnz .LBB17_1134
; %bb.1133:
	global_load_dword v3, v[0:1], off
.LBB17_1134:
	s_mov_b64 s[2:3], 0
.LBB17_1135:
	s_andn2_b64 vcc, exec, s[2:3]
	s_cbranch_vccnz .LBB17_1137
; %bb.1136:
	global_load_dword v3, v[0:1], off
	s_waitcnt vmcnt(0)
	v_cvt_f32_f16_e32 v3, v3
.LBB17_1137:
	s_cbranch_execnz .LBB17_1148
.LBB17_1138:
	v_cmp_gt_i16_e32 vcc, 6, v9
	s_cbranch_vccnz .LBB17_1141
; %bb.1139:
	v_cmp_lt_i16_e32 vcc, 6, v9
	s_cbranch_vccz .LBB17_1142
; %bb.1140:
	global_load_dwordx2 v[4:5], v[0:1], off
	s_mov_b64 s[2:3], 0
	s_waitcnt vmcnt(0)
	v_cvt_f32_f64_e32 v3, v[4:5]
	s_branch .LBB17_1143
.LBB17_1141:
	s_mov_b64 s[2:3], -1
                                        ; implicit-def: $vgpr3
	s_branch .LBB17_1146
.LBB17_1142:
	s_mov_b64 s[2:3], -1
                                        ; implicit-def: $vgpr3
.LBB17_1143:
	s_andn2_b64 vcc, exec, s[2:3]
	s_cbranch_vccnz .LBB17_1145
; %bb.1144:
	global_load_dword v3, v[0:1], off
.LBB17_1145:
	s_mov_b64 s[2:3], 0
.LBB17_1146:
	s_andn2_b64 vcc, exec, s[2:3]
	s_cbranch_vccnz .LBB17_1148
; %bb.1147:
	global_load_ushort v3, v[0:1], off
	s_waitcnt vmcnt(0)
	v_cvt_f32_f16_e32 v3, v3
.LBB17_1148:
	s_cbranch_execnz .LBB17_1167
.LBB17_1149:
	v_cmp_gt_i16_e32 vcc, 2, v9
	s_cbranch_vccnz .LBB17_1153
; %bb.1150:
	v_cmp_gt_i16_e32 vcc, 3, v9
	s_cbranch_vccnz .LBB17_1154
; %bb.1151:
	v_cmp_lt_i16_e32 vcc, 3, v9
	s_cbranch_vccz .LBB17_1155
; %bb.1152:
	global_load_dwordx2 v[4:5], v[0:1], off
	s_mov_b64 s[2:3], 0
	s_waitcnt vmcnt(0)
	v_xor_b32_e32 v6, v4, v5
	v_ffbh_i32_e32 v3, v5
	v_ashrrev_i32_e32 v6, 31, v6
	v_add_u32_e32 v3, -1, v3
	v_add_u32_e32 v6, 32, v6
	v_min_u32_e32 v3, v3, v6
	v_lshlrev_b64 v[4:5], v3, v[4:5]
	v_min_u32_e32 v4, 1, v4
	v_or_b32_e32 v4, v5, v4
	v_cvt_f32_i32_e32 v4, v4
	v_sub_u32_e32 v3, 32, v3
	v_ldexp_f32 v3, v4, v3
	s_branch .LBB17_1156
.LBB17_1153:
                                        ; implicit-def: $vgpr3
	s_branch .LBB17_1162
.LBB17_1154:
	s_mov_b64 s[2:3], -1
                                        ; implicit-def: $vgpr3
	s_branch .LBB17_1159
.LBB17_1155:
	s_mov_b64 s[2:3], -1
                                        ; implicit-def: $vgpr3
.LBB17_1156:
	s_andn2_b64 vcc, exec, s[2:3]
	s_cbranch_vccnz .LBB17_1158
; %bb.1157:
	global_load_dword v3, v[0:1], off
	s_waitcnt vmcnt(0)
	v_cvt_f32_i32_e32 v3, v3
.LBB17_1158:
	s_mov_b64 s[2:3], 0
.LBB17_1159:
	s_andn2_b64 vcc, exec, s[2:3]
	s_cbranch_vccnz .LBB17_1161
; %bb.1160:
	global_load_sshort v3, v[0:1], off
	s_waitcnt vmcnt(0)
	v_cvt_f32_i32_e32 v3, v3
.LBB17_1161:
	s_cbranch_execnz .LBB17_1167
.LBB17_1162:
	v_cmp_lt_i16_e32 vcc, 0, v9
	s_cbranch_vccz .LBB17_1164
; %bb.1163:
	global_load_sbyte v3, v[0:1], off
	s_mov_b64 s[2:3], 0
	s_waitcnt vmcnt(0)
	v_cvt_f32_i32_e32 v3, v3
	s_branch .LBB17_1165
.LBB17_1164:
	s_mov_b64 s[2:3], -1
                                        ; implicit-def: $vgpr3
.LBB17_1165:
	s_andn2_b64 vcc, exec, s[2:3]
	s_cbranch_vccnz .LBB17_1167
; %bb.1166:
	global_load_ubyte v0, v[0:1], off
	s_waitcnt vmcnt(0)
	v_cvt_f32_ubyte0_e32 v3, v0
.LBB17_1167:
.LBB17_1168:
	s_mov_b32 s2, 0x41000000
	s_waitcnt vmcnt(0)
	v_cmp_le_f32_e64 s[2:3], |v3|, s2
                                        ; implicit-def: $vgpr0
	s_and_saveexec_b64 s[16:17], s[2:3]
	s_xor_b64 s[2:3], exec, s[16:17]
	s_cbranch_execz .LBB17_1170
; %bb.1169:
	v_fma_f32 v0, |v3|, 0.5, -2.0
	v_mov_b32_e32 v1, 0x24199b15
	v_fmac_f32_e32 v1, 0xa2a2e5b9, v0
	v_mov_b32_e32 v4, 0x22a2e5b9
	v_fmac_f32_e32 v4, v0, v1
	v_add_f32_e32 v4, 0xa58c275c, v4
	v_fma_f32 v1, v0, v4, -v1
	v_add_f32_e32 v1, 0x26f736c5, v1
	v_fma_f32 v4, v0, v1, -v4
	;; [unrolled: 2-line block ×22, first 2 shown]
	v_add_f32_e32 v4, 0xbcc274f8, v4
	s_mov_b32 s16, 0x3fb8aa3b
	v_fma_f32 v1, v0, v4, -v1
	v_mul_f32_e64 v5, |v3|, s16
	v_add_f32_e32 v1, 0x3d49f456, v1
	v_rndne_f32_e32 v6, v5
	v_fma_f32 v4, v0, v1, -v4
	v_sub_f32_e32 v7, v5, v6
	v_fma_f32 v5, |v3|, s16, -v5
	s_mov_b32 s16, 0x32a5705f
	v_add_f32_e32 v4, 0xbdc25b82, v4
	v_fma_f32 v5, |v3|, s16, v5
	v_fma_f32 v1, v0, v4, -v1
	v_add_f32_e32 v5, v7, v5
	v_add_f32_e32 v1, 0x3e2fbd64, v1
	v_exp_f32_e32 v5, v5
	v_cvt_i32_f32_e32 v6, v6
	v_fma_f32 v4, v0, v1, -v4
	v_add_f32_e32 v4, 0xbe9bff5e, v4
	v_fma_f32 v0, v0, v4, -v1
	s_mov_b32 s16, 0xc2ce8ed0
	v_add_f32_e32 v0, 0x3f2d4275, v0
	v_ldexp_f32 v4, v5, v6
	v_cmp_nlt_f32_e64 vcc, |v3|, s16
	s_mov_b32 s16, 0x42b17218
	v_cndmask_b32_e32 v4, 0, v4, vcc
	v_mov_b32_e32 v5, 0x7f800000
	v_cmp_ngt_f32_e64 vcc, |v3|, s16
	v_sub_f32_e32 v0, v0, v1
	v_cndmask_b32_e32 v3, v5, v4, vcc
	v_mul_f32_e32 v0, 0.5, v0
	v_mul_f32_e32 v0, v3, v0
                                        ; implicit-def: $vgpr3
.LBB17_1170:
	s_andn2_saveexec_b64 s[16:17], s[2:3]
	s_cbranch_execz .LBB17_1172
; %bb.1171:
	v_and_b32_e32 v0, 0x7fffffff, v3
	s_mov_b32 s18, 0x42000000
	v_div_scale_f32 v1, s[2:3], v0, v0, s18
	v_rcp_f32_e32 v4, v1
	v_div_scale_f32 v0, vcc, s18, v0, s18
	s_mov_b32 s2, 0x3fb8aa3b
	v_fma_f32 v5, -v1, v4, 1.0
	v_fmac_f32_e32 v4, v5, v4
	v_mul_f32_e32 v5, v0, v4
	v_fma_f32 v6, -v1, v5, v0
	v_fmac_f32_e32 v5, v6, v4
	v_fma_f32 v0, -v1, v5, v0
	v_div_fmas_f32 v0, v0, v4, v5
	v_div_fixup_f32 v0, v0, |v3|, s18
	v_add_f32_e32 v0, -2.0, v0
	v_mov_b32_e32 v1, 0xa2b236d3
	v_fmac_f32_e32 v1, 0xa3056dbb, v0
	v_mov_b32_e32 v4, 0x23056dbb
	v_fmac_f32_e32 v4, v0, v1
	v_add_f32_e32 v4, 0x244df0c1, v4
	v_fma_f32 v1, v0, v4, -v1
	v_add_f32_e32 v1, 0x241f9ee8, v1
	v_fma_f32 v4, v0, v1, -v4
	;; [unrolled: 2-line block ×17, first 2 shown]
	v_add_f32_e32 v1, 0x32c2b494, v1
	v_mul_f32_e64 v5, |v3|, s2
	v_fma_f32 v4, v0, v1, -v4
	v_rndne_f32_e32 v6, v5
	v_add_f32_e32 v4, 0x345c003f, v4
	v_sub_f32_e32 v7, v5, v6
	v_fma_f32 v5, |v3|, s2, -v5
	s_mov_b32 s2, 0x32a5705f
	v_fma_f32 v1, v0, v4, -v1
	v_fma_f32 v5, |v3|, s2, v5
	v_add_f32_e32 v1, 0x3642095e, v1
	v_add_f32_e32 v5, v7, v5
	v_fma_f32 v4, v0, v1, -v4
	v_exp_f32_e32 v5, v5
	v_cvt_i32_f32_e32 v6, v6
	v_add_f32_e32 v4, 0x38907d1c, v4
	v_fma_f32 v1, v0, v4, -v1
	v_add_f32_e32 v1, 0x3b5ccc65, v1
	s_mov_b32 s2, 0xc2ce8ed0
	v_fma_f32 v0, v0, v1, -v4
	v_ldexp_f32 v1, v5, v6
	v_cmp_nlt_f32_e64 vcc, |v3|, s2
	s_mov_b32 s2, 0x42b17218
	v_cndmask_b32_e32 v1, 0, v1, vcc
	v_mov_b32_e32 v5, 0x7f800000
	v_cmp_ngt_f32_e64 vcc, |v3|, s2
	s_mov_b32 s2, 0xf800000
	s_mov_b32 s3, 0x4f800000
	v_cndmask_b32_e32 v1, v5, v1, vcc
	v_mul_f32_e64 v5, |v3|, s3
	v_cmp_lt_f32_e64 vcc, |v3|, s2
	v_cndmask_b32_e64 v3, |v3|, v5, vcc
	v_sqrt_f32_e32 v5, v3
	v_add_f32_e32 v0, 0x3f4df315, v0
	v_sub_f32_e32 v0, v0, v4
	v_mul_f32_e32 v0, 0.5, v0
	v_mul_f32_e32 v0, v1, v0
	v_add_u32_e32 v1, -1, v5
	v_fma_f32 v4, -v1, v5, v3
	v_cmp_ge_f32_e64 s[2:3], 0, v4
	v_add_u32_e32 v4, 1, v5
	v_cndmask_b32_e64 v1, v5, v1, s[2:3]
	v_fma_f32 v5, -v4, v5, v3
	v_cmp_lt_f32_e64 s[2:3], 0, v5
	v_cndmask_b32_e64 v1, v1, v4, s[2:3]
	v_mul_f32_e32 v4, 0x37800000, v1
	v_cndmask_b32_e32 v1, v1, v4, vcc
	v_mov_b32_e32 v4, 0x260
	v_cmp_class_f32_e32 vcc, v3, v4
	v_cndmask_b32_e32 v1, v1, v3, vcc
	v_div_scale_f32 v3, s[2:3], v1, v1, v0
	v_rcp_f32_e32 v4, v3
	v_fma_f32 v5, -v3, v4, 1.0
	v_fmac_f32_e32 v4, v5, v4
	v_div_scale_f32 v5, vcc, v0, v1, v0
	v_mul_f32_e32 v6, v5, v4
	v_fma_f32 v7, -v3, v6, v5
	v_fmac_f32_e32 v6, v7, v4
	v_fma_f32 v3, -v3, v6, v5
	v_div_fmas_f32 v3, v3, v4, v6
	v_div_fixup_f32 v0, v3, v1, v0
.LBB17_1172:
	s_or_b64 exec, exec, s[16:17]
	s_lshl_b32 s13, s13, 7
	v_add_u32_e32 v1, s13, v2
	v_ashrrev_i32_e32 v3, 31, v1
	v_mov_b32_e32 v4, s11
	v_add_co_u32_e32 v2, vcc, s10, v1
	v_addc_co_u32_e32 v3, vcc, v4, v3, vcc
	s_and_b64 vcc, exec, s[0:1]
	s_cbranch_vccnz .LBB17_1179
; %bb.1173:
	v_cmp_lt_i16_e32 vcc, 25, v9
	s_mov_b64 s[16:17], 0
	s_cbranch_vccz .LBB17_1181
; %bb.1174:
	v_cmp_lt_i16_e32 vcc, 28, v9
	s_cbranch_vccz .LBB17_1182
; %bb.1175:
	v_cmp_lt_i16_e32 vcc, 43, v9
	;; [unrolled: 3-line block ×3, first 2 shown]
	s_cbranch_vccz .LBB17_1185
; %bb.1177:
	v_cmp_eq_u16_e32 vcc, 46, v9
	s_mov_b64 s[20:21], 0
	s_cbranch_vccz .LBB17_1188
; %bb.1178:
	global_load_dword v4, v[2:3], off
	s_mov_b64 s[2:3], 0
	s_mov_b64 s[18:19], -1
	s_waitcnt vmcnt(0)
	v_lshlrev_b32_e32 v4, 16, v4
	s_branch .LBB17_1189
.LBB17_1179:
	s_mov_b64 s[18:19], 0
                                        ; implicit-def: $vgpr4
	s_cbranch_execnz .LBB17_1254
.LBB17_1180:
	s_andn2_b64 vcc, exec, s[18:19]
	s_cbranch_vccnz .LBB17_1579
	s_branch .LBB17_1301
.LBB17_1181:
	s_mov_b64 s[18:19], 0
	s_mov_b64 s[2:3], 0
                                        ; implicit-def: $vgpr4
	s_cbranch_execnz .LBB17_1218
	s_branch .LBB17_1250
.LBB17_1182:
	s_mov_b64 s[20:21], -1
	s_mov_b64 s[18:19], 0
	s_mov_b64 s[2:3], 0
                                        ; implicit-def: $vgpr4
	s_branch .LBB17_1199
.LBB17_1183:
	s_mov_b64 s[20:21], -1
	s_mov_b64 s[18:19], 0
	s_mov_b64 s[2:3], 0
                                        ; implicit-def: $vgpr4
	s_branch .LBB17_1194
.LBB17_1184:
	s_or_b64 s[14:15], s[6:7], exec
	s_trap 2
                                        ; implicit-def: $vgpr3
	s_cbranch_execz .LBB17_1121
	s_branch .LBB17_1122
.LBB17_1185:
	s_mov_b64 s[20:21], -1
	s_mov_b64 s[18:19], 0
	s_mov_b64 s[2:3], 0
                                        ; implicit-def: $vgpr4
	s_branch .LBB17_1189
.LBB17_1186:
	s_or_saveexec_b64 s[24:25], s[24:25]
                                        ; implicit-def: $sgpr26
	s_xor_b64 exec, exec, s[24:25]
	s_cbranch_execz .LBB17_968
.LBB17_1187:
	s_mov_b32 s26, 0x42800000
	v_add_f32_e64 v1, |v0|, s26
	v_and_b32_e32 v1, 0xff, v1
	v_cmp_ne_u32_e32 vcc, 0, v1
	s_andn2_b64 s[22:23], s[22:23], exec
	s_and_b64 s[28:29], vcc, exec
	s_mov_b32 s26, 0
	s_or_b64 s[22:23], s[22:23], s[28:29]
	s_or_b64 exec, exec, s[24:25]
	v_mov_b32_e32 v5, s26
	s_and_saveexec_b64 s[24:25], s[22:23]
	s_cbranch_execnz .LBB17_969
	s_branch .LBB17_970
.LBB17_1188:
	s_mov_b64 s[2:3], -1
                                        ; implicit-def: $vgpr4
	s_mov_b64 s[18:19], 0
.LBB17_1189:
	s_and_b64 vcc, exec, s[20:21]
	s_cbranch_vccz .LBB17_1193
; %bb.1190:
	v_cmp_eq_u16_e32 vcc, 44, v9
	s_cbranch_vccz .LBB17_1192
; %bb.1191:
	global_load_ubyte v4, v[2:3], off
	s_movk_i32 s18, 0xff
	v_mov_b32_e32 v5, 0x7f800001
	v_mov_b32_e32 v6, 0x400000
	s_mov_b64 s[2:3], 0
	s_waitcnt vmcnt(0)
	v_lshlrev_b32_e32 v7, 23, v4
	v_cmp_ne_u32_e32 vcc, s18, v4
	v_cndmask_b32_e32 v5, v5, v7, vcc
	v_cmp_ne_u32_e32 vcc, 0, v4
	v_cndmask_b32_e32 v4, v6, v5, vcc
	s_mov_b64 s[18:19], -1
	s_branch .LBB17_1193
.LBB17_1192:
	s_mov_b64 s[2:3], -1
                                        ; implicit-def: $vgpr4
.LBB17_1193:
	s_mov_b64 s[20:21], 0
.LBB17_1194:
	s_and_b64 vcc, exec, s[20:21]
	s_cbranch_vccz .LBB17_1198
; %bb.1195:
	v_cmp_eq_u16_e32 vcc, 29, v9
	s_cbranch_vccz .LBB17_1197
; %bb.1196:
	global_load_dwordx2 v[4:5], v[2:3], off
	s_mov_b64 s[2:3], 0
	s_mov_b64 s[18:19], -1
	s_mov_b64 s[20:21], 0
	s_waitcnt vmcnt(0)
	v_ffbh_u32_e32 v6, v5
	v_min_u32_e32 v6, 32, v6
	v_lshlrev_b64 v[4:5], v6, v[4:5]
	v_min_u32_e32 v4, 1, v4
	v_or_b32_e32 v4, v5, v4
	v_cvt_f32_u32_e32 v4, v4
	v_sub_u32_e32 v5, 32, v6
	v_ldexp_f32 v4, v4, v5
	s_branch .LBB17_1199
.LBB17_1197:
	s_mov_b64 s[2:3], -1
                                        ; implicit-def: $vgpr4
.LBB17_1198:
	s_mov_b64 s[20:21], 0
.LBB17_1199:
	s_and_b64 vcc, exec, s[20:21]
	s_cbranch_vccz .LBB17_1217
; %bb.1200:
	v_cmp_gt_i16_e32 vcc, 27, v9
	s_cbranch_vccnz .LBB17_1203
; %bb.1201:
	v_cmp_lt_i16_e32 vcc, 27, v9
	s_cbranch_vccz .LBB17_1204
; %bb.1202:
	global_load_dword v4, v[2:3], off
	s_mov_b64 s[18:19], 0
	s_waitcnt vmcnt(0)
	v_cvt_f32_u32_e32 v4, v4
	s_branch .LBB17_1205
.LBB17_1203:
	s_mov_b64 s[18:19], -1
                                        ; implicit-def: $vgpr4
	s_branch .LBB17_1208
.LBB17_1204:
	s_mov_b64 s[18:19], -1
                                        ; implicit-def: $vgpr4
.LBB17_1205:
	s_andn2_b64 vcc, exec, s[18:19]
	s_cbranch_vccnz .LBB17_1207
; %bb.1206:
	global_load_ushort v4, v[2:3], off
	s_waitcnt vmcnt(0)
	v_cvt_f32_u32_e32 v4, v4
.LBB17_1207:
	s_mov_b64 s[18:19], 0
.LBB17_1208:
	s_andn2_b64 vcc, exec, s[18:19]
	s_cbranch_vccnz .LBB17_1216
; %bb.1209:
	global_load_ubyte v5, v[2:3], off
	s_movk_i32 s18, 0x7f
                                        ; implicit-def: $sgpr24
	s_waitcnt vmcnt(0)
	v_cmp_lt_i16_e32 vcc, s18, v5
	s_mov_b64 s[18:19], 0
	s_and_saveexec_b64 s[20:21], vcc
	s_xor_b64 s[20:21], exec, s[20:21]
	s_cbranch_execz .LBB17_1229
; %bb.1210:
	s_movk_i32 s18, 0x80
	v_cmp_eq_u16_e32 vcc, s18, v5
	s_mov_b64 s[18:19], -1
                                        ; implicit-def: $sgpr24
	s_and_saveexec_b64 s[22:23], vcc
; %bb.1211:
	s_mov_b32 s24, 0x7f800001
	s_xor_b64 s[18:19], exec, -1
; %bb.1212:
	s_or_b64 exec, exec, s[22:23]
	s_and_b64 s[18:19], s[18:19], exec
	s_or_saveexec_b64 s[20:21], s[20:21]
	v_mov_b32_e32 v4, s24
	s_xor_b64 exec, exec, s[20:21]
	s_cbranch_execnz .LBB17_1230
.LBB17_1213:
	s_or_b64 exec, exec, s[20:21]
	s_and_saveexec_b64 s[20:21], s[18:19]
	s_cbranch_execz .LBB17_1215
.LBB17_1214:
	v_lshlrev_b32_e32 v4, 24, v5
	v_and_b32_e32 v5, 0xffff, v5
	v_and_b32_e32 v6, 7, v5
	v_ffbh_u32_e32 v11, v6
	v_min_u32_e32 v11, 32, v11
	v_subrev_u32_e32 v12, 28, v11
	v_bfe_u32 v7, v5, 3, 4
	v_lshlrev_b32_e32 v5, v12, v5
	v_sub_u32_e32 v11, 29, v11
	v_and_b32_e32 v5, 7, v5
	v_cmp_eq_u32_e32 vcc, 0, v7
	v_cndmask_b32_e32 v7, v7, v11, vcc
	v_cndmask_b32_e32 v5, v6, v5, vcc
	v_mov_b32_e32 v6, 0x3b800000
	v_lshlrev_b32_e32 v5, 20, v5
	v_and_b32_e32 v4, 0x80000000, v4
	v_lshl_add_u32 v6, v7, 23, v6
	v_or3_b32 v4, v4, v6, v5
.LBB17_1215:
	s_or_b64 exec, exec, s[20:21]
.LBB17_1216:
	s_mov_b64 s[18:19], -1
.LBB17_1217:
	s_branch .LBB17_1250
.LBB17_1218:
	v_cmp_lt_i16_e32 vcc, 22, v9
	s_cbranch_vccz .LBB17_1228
; %bb.1219:
	v_cmp_gt_i16_e32 vcc, 24, v9
	s_cbranch_vccnz .LBB17_1231
; %bb.1220:
	v_cmp_lt_i16_e32 vcc, 24, v9
	s_cbranch_vccz .LBB17_1232
; %bb.1221:
	global_load_ubyte v5, v[2:3], off
	s_movk_i32 s16, 0x7f
                                        ; implicit-def: $sgpr22
	s_waitcnt vmcnt(0)
	v_cmp_lt_i16_e32 vcc, s16, v5
	s_mov_b64 s[16:17], 0
	s_and_saveexec_b64 s[18:19], vcc
	s_xor_b64 s[18:19], exec, s[18:19]
	s_cbranch_execz .LBB17_1244
; %bb.1222:
	s_movk_i32 s16, 0x80
	v_cmp_eq_u16_e32 vcc, s16, v5
	s_mov_b64 s[16:17], -1
                                        ; implicit-def: $sgpr22
	s_and_saveexec_b64 s[20:21], vcc
; %bb.1223:
	s_mov_b32 s22, 0x7f800001
	s_xor_b64 s[16:17], exec, -1
; %bb.1224:
	s_or_b64 exec, exec, s[20:21]
	s_and_b64 s[16:17], s[16:17], exec
	s_or_saveexec_b64 s[18:19], s[18:19]
	v_mov_b32_e32 v4, s22
	s_xor_b64 exec, exec, s[18:19]
	s_cbranch_execnz .LBB17_1245
.LBB17_1225:
	s_or_b64 exec, exec, s[18:19]
	s_and_saveexec_b64 s[18:19], s[16:17]
	s_cbranch_execz .LBB17_1227
.LBB17_1226:
	v_lshlrev_b32_e32 v4, 24, v5
	v_and_b32_e32 v5, 0xffff, v5
	v_and_b32_e32 v6, 3, v5
	v_ffbh_u32_e32 v11, v6
	v_min_u32_e32 v11, 32, v11
	v_subrev_u32_e32 v12, 29, v11
	v_bfe_u32 v7, v5, 2, 5
	v_lshlrev_b32_e32 v5, v12, v5
	v_sub_u32_e32 v11, 30, v11
	v_and_b32_e32 v5, 3, v5
	v_cmp_eq_u32_e32 vcc, 0, v7
	v_cndmask_b32_e32 v7, v7, v11, vcc
	v_cndmask_b32_e32 v5, v6, v5, vcc
	v_mov_b32_e32 v6, 0x37800000
	v_lshlrev_b32_e32 v5, 21, v5
	v_and_b32_e32 v4, 0x80000000, v4
	v_lshl_add_u32 v6, v7, 23, v6
	v_or3_b32 v4, v4, v6, v5
.LBB17_1227:
	s_or_b64 exec, exec, s[18:19]
	s_mov_b64 s[16:17], 0
	s_branch .LBB17_1233
.LBB17_1228:
	s_mov_b64 s[16:17], -1
                                        ; implicit-def: $vgpr4
	s_branch .LBB17_1239
.LBB17_1229:
	s_or_saveexec_b64 s[20:21], s[20:21]
	v_mov_b32_e32 v4, s24
	s_xor_b64 exec, exec, s[20:21]
	s_cbranch_execz .LBB17_1213
.LBB17_1230:
	v_cmp_ne_u16_e32 vcc, 0, v5
	s_andn2_b64 s[18:19], s[18:19], exec
	s_and_b64 s[22:23], vcc, exec
	v_mov_b32_e32 v4, 0
	s_or_b64 s[18:19], s[18:19], s[22:23]
	s_or_b64 exec, exec, s[20:21]
	s_and_saveexec_b64 s[20:21], s[18:19]
	s_cbranch_execnz .LBB17_1214
	s_branch .LBB17_1215
.LBB17_1231:
	s_mov_b64 s[16:17], -1
                                        ; implicit-def: $vgpr4
	s_branch .LBB17_1236
.LBB17_1232:
	s_mov_b64 s[16:17], -1
                                        ; implicit-def: $vgpr4
.LBB17_1233:
	s_and_b64 vcc, exec, s[16:17]
	s_cbranch_vccz .LBB17_1235
; %bb.1234:
	global_load_ubyte v4, v[2:3], off
	s_mov_b32 s16, 0x7f800000
	s_waitcnt vmcnt(0)
	v_lshlrev_b32_e32 v4, 24, v4
	v_and_b32_e32 v5, 0x7f000000, v4
	v_ffbh_u32_e32 v6, v5
	v_min_u32_e32 v6, 32, v6
	v_sub_u32_e64 v6, v6, 4 clamp
	v_lshlrev_b32_e32 v11, v6, v5
	v_lshlrev_b32_e32 v6, 23, v6
	v_lshrrev_b32_e32 v11, 4, v11
	v_add_u32_e32 v7, 0x1000000, v5
	v_sub_u32_e32 v6, v11, v6
	v_ashrrev_i32_e32 v7, 8, v7
	v_add_u32_e32 v6, 0x3c000000, v6
	v_and_or_b32 v6, v7, s16, v6
	v_cmp_ne_u32_e32 vcc, 0, v5
	v_cndmask_b32_e32 v5, 0, v6, vcc
	s_brev_b32 s16, 1
	v_and_or_b32 v4, v4, s16, v5
.LBB17_1235:
	s_mov_b64 s[16:17], 0
.LBB17_1236:
	s_andn2_b64 vcc, exec, s[16:17]
	s_cbranch_vccnz .LBB17_1238
; %bb.1237:
	global_load_ubyte v4, v[2:3], off
	s_movk_i32 s16, 0x7f00
	s_brev_b32 s17, 16
	s_waitcnt vmcnt(0)
	v_lshlrev_b16_e32 v5, 8, v4
	v_lshlrev_b32_e32 v4, 25, v4
	v_lshrrev_b32_e32 v6, 4, v4
	v_and_or_b32 v7, v5, s16, 0.5
	v_or_b32_e32 v6, 0x70000000, v6
	v_add_f32_e32 v7, -0.5, v7
	v_mul_f32_e32 v6, 0x7800000, v6
	v_cmp_gt_u32_e32 vcc, s17, v4
	v_bfe_i32 v5, v5, 0, 16
	v_cndmask_b32_e32 v4, v6, v7, vcc
	s_brev_b32 s16, 1
	v_and_or_b32 v4, v5, s16, v4
.LBB17_1238:
	s_mov_b64 s[16:17], 0
	s_mov_b64 s[18:19], -1
.LBB17_1239:
	s_andn2_b64 vcc, exec, s[16:17]
	s_mov_b64 s[16:17], 0
	s_cbranch_vccnz .LBB17_1250
; %bb.1240:
	v_cmp_lt_i16_e32 vcc, 14, v9
	s_cbranch_vccz .LBB17_1243
; %bb.1241:
	v_cmp_eq_u16_e32 vcc, 15, v9
	s_cbranch_vccz .LBB17_1246
; %bb.1242:
	global_load_ushort v4, v[2:3], off
	s_mov_b64 s[2:3], 0
	s_mov_b64 s[18:19], -1
	s_waitcnt vmcnt(0)
	v_lshlrev_b32_e32 v4, 16, v4
	s_branch .LBB17_1247
.LBB17_1243:
	s_mov_b64 s[20:21], -1
                                        ; implicit-def: $vgpr4
	s_branch .LBB17_1248
.LBB17_1244:
	s_or_saveexec_b64 s[18:19], s[18:19]
	v_mov_b32_e32 v4, s22
	s_xor_b64 exec, exec, s[18:19]
	s_cbranch_execz .LBB17_1225
.LBB17_1245:
	v_cmp_ne_u16_e32 vcc, 0, v5
	s_andn2_b64 s[16:17], s[16:17], exec
	s_and_b64 s[20:21], vcc, exec
	v_mov_b32_e32 v4, 0
	s_or_b64 s[16:17], s[16:17], s[20:21]
	s_or_b64 exec, exec, s[18:19]
	s_and_saveexec_b64 s[18:19], s[16:17]
	s_cbranch_execnz .LBB17_1226
	s_branch .LBB17_1227
.LBB17_1246:
	s_mov_b64 s[2:3], -1
                                        ; implicit-def: $vgpr4
.LBB17_1247:
	s_mov_b64 s[20:21], 0
.LBB17_1248:
	s_and_b64 vcc, exec, s[20:21]
	s_cbranch_vccz .LBB17_1250
; %bb.1249:
	v_cmp_ne_u16_e64 s[2:3], 11, v9
	s_mov_b64 s[16:17], -1
                                        ; implicit-def: $vgpr4
.LBB17_1250:
	s_and_b64 vcc, exec, s[2:3]
	s_cbranch_vccnz .LBB17_1317
; %bb.1251:
	s_andn2_b64 vcc, exec, s[16:17]
	s_cbranch_vccnz .LBB17_1253
.LBB17_1252:
	global_load_ubyte v4, v[2:3], off
	s_mov_b64 s[18:19], -1
	s_waitcnt vmcnt(0)
	v_cmp_ne_u16_e32 vcc, 0, v4
	v_cndmask_b32_e64 v4, 0, 1.0, vcc
.LBB17_1253:
	s_branch .LBB17_1180
.LBB17_1254:
	v_cmp_gt_i16_e32 vcc, 5, v9
	s_cbranch_vccnz .LBB17_1259
; %bb.1255:
	v_cmp_gt_i16_e32 vcc, 8, v9
	s_cbranch_vccnz .LBB17_1260
; %bb.1256:
	;; [unrolled: 3-line block ×3, first 2 shown]
	v_cmp_lt_i16_e32 vcc, 9, v9
	s_cbranch_vccz .LBB17_1262
; %bb.1258:
	global_load_dwordx2 v[4:5], v[2:3], off
	s_mov_b64 s[2:3], 0
	s_waitcnt vmcnt(0)
	v_cvt_f32_f64_e32 v4, v[4:5]
	s_branch .LBB17_1263
.LBB17_1259:
                                        ; implicit-def: $vgpr4
	s_branch .LBB17_1281
.LBB17_1260:
	s_mov_b64 s[2:3], -1
                                        ; implicit-def: $vgpr4
	s_branch .LBB17_1269
.LBB17_1261:
	s_mov_b64 s[2:3], -1
                                        ; implicit-def: $vgpr4
	s_branch .LBB17_1266
.LBB17_1262:
	s_mov_b64 s[2:3], -1
                                        ; implicit-def: $vgpr4
.LBB17_1263:
	s_andn2_b64 vcc, exec, s[2:3]
	s_cbranch_vccnz .LBB17_1265
; %bb.1264:
	global_load_dword v4, v[2:3], off
.LBB17_1265:
	s_mov_b64 s[2:3], 0
.LBB17_1266:
	s_andn2_b64 vcc, exec, s[2:3]
	s_cbranch_vccnz .LBB17_1268
; %bb.1267:
	global_load_dword v4, v[2:3], off
	s_waitcnt vmcnt(0)
	v_cvt_f32_f16_e32 v4, v4
.LBB17_1268:
	s_mov_b64 s[2:3], 0
.LBB17_1269:
	s_andn2_b64 vcc, exec, s[2:3]
	s_cbranch_vccnz .LBB17_1280
; %bb.1270:
	v_cmp_gt_i16_e32 vcc, 6, v9
	s_cbranch_vccnz .LBB17_1273
; %bb.1271:
	v_cmp_lt_i16_e32 vcc, 6, v9
	s_cbranch_vccz .LBB17_1274
; %bb.1272:
	global_load_dwordx2 v[4:5], v[2:3], off
	s_mov_b64 s[2:3], 0
	s_waitcnt vmcnt(0)
	v_cvt_f32_f64_e32 v4, v[4:5]
	s_branch .LBB17_1275
.LBB17_1273:
	s_mov_b64 s[2:3], -1
                                        ; implicit-def: $vgpr4
	s_branch .LBB17_1278
.LBB17_1274:
	s_mov_b64 s[2:3], -1
                                        ; implicit-def: $vgpr4
.LBB17_1275:
	s_andn2_b64 vcc, exec, s[2:3]
	s_cbranch_vccnz .LBB17_1277
; %bb.1276:
	global_load_dword v4, v[2:3], off
.LBB17_1277:
	s_mov_b64 s[2:3], 0
.LBB17_1278:
	s_andn2_b64 vcc, exec, s[2:3]
	s_cbranch_vccnz .LBB17_1280
; %bb.1279:
	global_load_ushort v4, v[2:3], off
	s_waitcnt vmcnt(0)
	v_cvt_f32_f16_e32 v4, v4
.LBB17_1280:
	s_cbranch_execnz .LBB17_1300
.LBB17_1281:
	v_cmp_gt_i16_e32 vcc, 2, v9
	s_cbranch_vccnz .LBB17_1285
; %bb.1282:
	v_cmp_gt_i16_e32 vcc, 3, v9
	s_cbranch_vccnz .LBB17_1286
; %bb.1283:
	v_cmp_lt_i16_e32 vcc, 3, v9
	s_cbranch_vccz .LBB17_1287
; %bb.1284:
	global_load_dwordx2 v[4:5], v[2:3], off
	s_mov_b64 s[2:3], 0
	s_waitcnt vmcnt(0)
	v_xor_b32_e32 v7, v4, v5
	v_ffbh_i32_e32 v6, v5
	v_ashrrev_i32_e32 v7, 31, v7
	v_add_u32_e32 v6, -1, v6
	v_add_u32_e32 v7, 32, v7
	v_min_u32_e32 v6, v6, v7
	v_lshlrev_b64 v[4:5], v6, v[4:5]
	v_min_u32_e32 v4, 1, v4
	v_or_b32_e32 v4, v5, v4
	v_cvt_f32_i32_e32 v4, v4
	v_sub_u32_e32 v5, 32, v6
	v_ldexp_f32 v4, v4, v5
	s_branch .LBB17_1288
.LBB17_1285:
	s_mov_b64 s[2:3], -1
                                        ; implicit-def: $vgpr4
	s_branch .LBB17_1294
.LBB17_1286:
	s_mov_b64 s[2:3], -1
                                        ; implicit-def: $vgpr4
	s_branch .LBB17_1291
.LBB17_1287:
	s_mov_b64 s[2:3], -1
                                        ; implicit-def: $vgpr4
.LBB17_1288:
	s_andn2_b64 vcc, exec, s[2:3]
	s_cbranch_vccnz .LBB17_1290
; %bb.1289:
	global_load_dword v4, v[2:3], off
	s_waitcnt vmcnt(0)
	v_cvt_f32_i32_e32 v4, v4
.LBB17_1290:
	s_mov_b64 s[2:3], 0
.LBB17_1291:
	s_andn2_b64 vcc, exec, s[2:3]
	s_cbranch_vccnz .LBB17_1293
; %bb.1292:
	global_load_sshort v4, v[2:3], off
	s_waitcnt vmcnt(0)
	v_cvt_f32_i32_e32 v4, v4
.LBB17_1293:
	s_mov_b64 s[2:3], 0
.LBB17_1294:
	s_andn2_b64 vcc, exec, s[2:3]
	s_cbranch_vccnz .LBB17_1300
; %bb.1295:
	v_cmp_lt_i16_e32 vcc, 0, v9
	s_cbranch_vccz .LBB17_1297
; %bb.1296:
	global_load_sbyte v4, v[2:3], off
	s_mov_b64 s[2:3], 0
	s_waitcnt vmcnt(0)
	v_cvt_f32_i32_e32 v4, v4
	s_branch .LBB17_1298
.LBB17_1297:
	s_mov_b64 s[2:3], -1
                                        ; implicit-def: $vgpr4
.LBB17_1298:
	s_andn2_b64 vcc, exec, s[2:3]
	s_cbranch_vccnz .LBB17_1300
; %bb.1299:
	global_load_ubyte v2, v[2:3], off
	s_waitcnt vmcnt(0)
	v_cvt_f32_ubyte0_e32 v4, v2
.LBB17_1300:
.LBB17_1301:
	s_mov_b32 s2, 0x41000000
	s_waitcnt vmcnt(0)
	v_cmp_le_f32_e64 s[2:3], |v4|, s2
                                        ; implicit-def: $vgpr2
	s_and_saveexec_b64 s[16:17], s[2:3]
	s_xor_b64 s[2:3], exec, s[16:17]
	s_cbranch_execz .LBB17_1303
; %bb.1302:
	v_fma_f32 v2, |v4|, 0.5, -2.0
	v_mov_b32_e32 v3, 0x24199b15
	v_fmac_f32_e32 v3, 0xa2a2e5b9, v2
	v_mov_b32_e32 v5, 0x22a2e5b9
	v_fmac_f32_e32 v5, v2, v3
	v_add_f32_e32 v5, 0xa58c275c, v5
	v_fma_f32 v3, v2, v5, -v3
	v_add_f32_e32 v3, 0x26f736c5, v3
	v_fma_f32 v5, v2, v3, -v5
	;; [unrolled: 2-line block ×22, first 2 shown]
	v_add_f32_e32 v5, 0xbcc274f8, v5
	s_mov_b32 s16, 0x3fb8aa3b
	v_fma_f32 v3, v2, v5, -v3
	v_mul_f32_e64 v6, |v4|, s16
	v_add_f32_e32 v3, 0x3d49f456, v3
	v_rndne_f32_e32 v7, v6
	v_fma_f32 v5, v2, v3, -v5
	v_sub_f32_e32 v11, v6, v7
	v_fma_f32 v6, |v4|, s16, -v6
	s_mov_b32 s16, 0x32a5705f
	v_add_f32_e32 v5, 0xbdc25b82, v5
	v_fma_f32 v6, |v4|, s16, v6
	v_fma_f32 v3, v2, v5, -v3
	v_add_f32_e32 v6, v11, v6
	v_add_f32_e32 v3, 0x3e2fbd64, v3
	v_exp_f32_e32 v6, v6
	v_cvt_i32_f32_e32 v7, v7
	v_fma_f32 v5, v2, v3, -v5
	v_add_f32_e32 v5, 0xbe9bff5e, v5
	v_fma_f32 v2, v2, v5, -v3
	s_mov_b32 s16, 0xc2ce8ed0
	v_add_f32_e32 v2, 0x3f2d4275, v2
	v_ldexp_f32 v5, v6, v7
	v_cmp_nlt_f32_e64 vcc, |v4|, s16
	s_mov_b32 s16, 0x42b17218
	v_cndmask_b32_e32 v5, 0, v5, vcc
	v_mov_b32_e32 v6, 0x7f800000
	v_cmp_ngt_f32_e64 vcc, |v4|, s16
	v_sub_f32_e32 v2, v2, v3
	v_cndmask_b32_e32 v4, v6, v5, vcc
	v_mul_f32_e32 v2, 0.5, v2
	v_mul_f32_e32 v2, v4, v2
                                        ; implicit-def: $vgpr4
.LBB17_1303:
	s_andn2_saveexec_b64 s[16:17], s[2:3]
	s_cbranch_execz .LBB17_1305
; %bb.1304:
	v_and_b32_e32 v2, 0x7fffffff, v4
	s_mov_b32 s18, 0x42000000
	v_div_scale_f32 v3, s[2:3], v2, v2, s18
	v_rcp_f32_e32 v5, v3
	v_div_scale_f32 v2, vcc, s18, v2, s18
	s_mov_b32 s2, 0x3fb8aa3b
	v_fma_f32 v6, -v3, v5, 1.0
	v_fmac_f32_e32 v5, v6, v5
	v_mul_f32_e32 v6, v2, v5
	v_fma_f32 v7, -v3, v6, v2
	v_fmac_f32_e32 v6, v7, v5
	v_fma_f32 v2, -v3, v6, v2
	v_div_fmas_f32 v2, v2, v5, v6
	v_div_fixup_f32 v2, v2, |v4|, s18
	v_add_f32_e32 v2, -2.0, v2
	v_mov_b32_e32 v3, 0xa2b236d3
	v_fmac_f32_e32 v3, 0xa3056dbb, v2
	v_mov_b32_e32 v5, 0x23056dbb
	v_fmac_f32_e32 v5, v2, v3
	v_add_f32_e32 v5, 0x244df0c1, v5
	v_fma_f32 v3, v2, v5, -v3
	v_add_f32_e32 v3, 0x241f9ee8, v3
	v_fma_f32 v5, v2, v3, -v5
	;; [unrolled: 2-line block ×17, first 2 shown]
	v_add_f32_e32 v3, 0x32c2b494, v3
	v_mul_f32_e64 v6, |v4|, s2
	v_fma_f32 v5, v2, v3, -v5
	v_rndne_f32_e32 v7, v6
	v_add_f32_e32 v5, 0x345c003f, v5
	v_sub_f32_e32 v11, v6, v7
	v_fma_f32 v6, |v4|, s2, -v6
	s_mov_b32 s2, 0x32a5705f
	v_fma_f32 v3, v2, v5, -v3
	v_fma_f32 v6, |v4|, s2, v6
	v_add_f32_e32 v3, 0x3642095e, v3
	v_add_f32_e32 v6, v11, v6
	v_fma_f32 v5, v2, v3, -v5
	v_exp_f32_e32 v6, v6
	v_cvt_i32_f32_e32 v7, v7
	v_add_f32_e32 v5, 0x38907d1c, v5
	v_fma_f32 v3, v2, v5, -v3
	v_add_f32_e32 v3, 0x3b5ccc65, v3
	s_mov_b32 s2, 0xc2ce8ed0
	v_fma_f32 v2, v2, v3, -v5
	v_ldexp_f32 v3, v6, v7
	v_cmp_nlt_f32_e64 vcc, |v4|, s2
	s_mov_b32 s2, 0x42b17218
	v_cndmask_b32_e32 v3, 0, v3, vcc
	v_mov_b32_e32 v6, 0x7f800000
	v_cmp_ngt_f32_e64 vcc, |v4|, s2
	s_mov_b32 s2, 0xf800000
	s_mov_b32 s3, 0x4f800000
	v_cndmask_b32_e32 v3, v6, v3, vcc
	v_mul_f32_e64 v6, |v4|, s3
	v_cmp_lt_f32_e64 vcc, |v4|, s2
	v_cndmask_b32_e64 v4, |v4|, v6, vcc
	v_sqrt_f32_e32 v6, v4
	v_add_f32_e32 v2, 0x3f4df315, v2
	v_sub_f32_e32 v2, v2, v5
	v_mul_f32_e32 v2, 0.5, v2
	v_mul_f32_e32 v2, v3, v2
	v_add_u32_e32 v3, -1, v6
	v_fma_f32 v5, -v3, v6, v4
	v_cmp_ge_f32_e64 s[2:3], 0, v5
	v_add_u32_e32 v5, 1, v6
	v_cndmask_b32_e64 v3, v6, v3, s[2:3]
	v_fma_f32 v6, -v5, v6, v4
	v_cmp_lt_f32_e64 s[2:3], 0, v6
	v_cndmask_b32_e64 v3, v3, v5, s[2:3]
	v_mul_f32_e32 v5, 0x37800000, v3
	v_cndmask_b32_e32 v3, v3, v5, vcc
	v_mov_b32_e32 v5, 0x260
	v_cmp_class_f32_e32 vcc, v4, v5
	v_cndmask_b32_e32 v3, v3, v4, vcc
	v_div_scale_f32 v4, s[2:3], v3, v3, v2
	v_rcp_f32_e32 v5, v4
	v_fma_f32 v6, -v4, v5, 1.0
	v_fmac_f32_e32 v5, v6, v5
	v_div_scale_f32 v6, vcc, v2, v3, v2
	v_mul_f32_e32 v7, v6, v5
	v_fma_f32 v11, -v4, v7, v6
	v_fmac_f32_e32 v7, v11, v5
	v_fma_f32 v4, -v4, v7, v6
	v_div_fmas_f32 v4, v4, v5, v7
	v_div_fixup_f32 v2, v4, v3, v2
.LBB17_1305:
	s_or_b64 exec, exec, s[16:17]
	v_add_u32_e32 v1, s13, v1
	v_ashrrev_i32_e32 v3, 31, v1
	v_mov_b32_e32 v5, s11
	v_add_co_u32_e32 v4, vcc, s10, v1
	v_addc_co_u32_e32 v5, vcc, v5, v3, vcc
	s_and_b64 vcc, exec, s[0:1]
	s_cbranch_vccnz .LBB17_1312
; %bb.1306:
	v_cmp_lt_i16_e32 vcc, 25, v9
	s_mov_b64 s[16:17], 0
	s_cbranch_vccz .LBB17_1314
; %bb.1307:
	v_cmp_lt_i16_e32 vcc, 28, v9
	s_cbranch_vccz .LBB17_1315
; %bb.1308:
	v_cmp_lt_i16_e32 vcc, 43, v9
	s_cbranch_vccz .LBB17_1316
; %bb.1309:
	v_cmp_lt_i16_e32 vcc, 45, v9
	s_cbranch_vccz .LBB17_1318
; %bb.1310:
	v_cmp_eq_u16_e32 vcc, 46, v9
	s_mov_b64 s[20:21], 0
	s_cbranch_vccz .LBB17_1319
; %bb.1311:
	global_load_dword v3, v[4:5], off
	s_mov_b64 s[2:3], 0
	s_mov_b64 s[18:19], -1
	s_waitcnt vmcnt(0)
	v_lshlrev_b32_e32 v3, 16, v3
	s_branch .LBB17_1320
.LBB17_1312:
	s_mov_b64 s[18:19], 0
                                        ; implicit-def: $vgpr3
	s_cbranch_execnz .LBB17_1386
.LBB17_1313:
	s_andn2_b64 vcc, exec, s[18:19]
	s_cbranch_vccnz .LBB17_1579
	s_branch .LBB17_1434
.LBB17_1314:
	s_mov_b64 s[20:21], -1
	s_mov_b64 s[18:19], 0
	s_mov_b64 s[2:3], 0
                                        ; implicit-def: $vgpr3
	s_branch .LBB17_1349
.LBB17_1315:
	s_mov_b64 s[20:21], -1
	s_mov_b64 s[18:19], 0
	s_mov_b64 s[2:3], 0
                                        ; implicit-def: $vgpr3
	s_branch .LBB17_1330
.LBB17_1316:
	s_mov_b64 s[20:21], -1
	s_mov_b64 s[18:19], 0
	s_mov_b64 s[2:3], 0
                                        ; implicit-def: $vgpr3
	s_branch .LBB17_1325
.LBB17_1317:
	s_trap 2
	s_or_b64 s[14:15], s[14:15], exec
                                        ; implicit-def: $vgpr4
	s_cbranch_execz .LBB17_1252
	s_branch .LBB17_1253
.LBB17_1318:
	s_mov_b64 s[20:21], -1
	s_mov_b64 s[18:19], 0
	s_mov_b64 s[2:3], 0
                                        ; implicit-def: $vgpr3
	s_branch .LBB17_1320
.LBB17_1319:
	s_mov_b64 s[2:3], -1
                                        ; implicit-def: $vgpr3
	s_mov_b64 s[18:19], 0
.LBB17_1320:
	s_and_b64 vcc, exec, s[20:21]
	s_cbranch_vccz .LBB17_1324
; %bb.1321:
	v_cmp_eq_u16_e32 vcc, 44, v9
	s_cbranch_vccz .LBB17_1323
; %bb.1322:
	global_load_ubyte v3, v[4:5], off
	s_movk_i32 s18, 0xff
	v_mov_b32_e32 v6, 0x7f800001
	v_mov_b32_e32 v7, 0x400000
	s_mov_b64 s[2:3], 0
	s_waitcnt vmcnt(0)
	v_lshlrev_b32_e32 v11, 23, v3
	v_cmp_ne_u32_e32 vcc, s18, v3
	v_cndmask_b32_e32 v6, v6, v11, vcc
	v_cmp_ne_u32_e32 vcc, 0, v3
	v_cndmask_b32_e32 v3, v7, v6, vcc
	s_mov_b64 s[18:19], -1
	s_branch .LBB17_1324
.LBB17_1323:
	s_mov_b64 s[2:3], -1
                                        ; implicit-def: $vgpr3
.LBB17_1324:
	s_mov_b64 s[20:21], 0
.LBB17_1325:
	s_and_b64 vcc, exec, s[20:21]
	s_cbranch_vccz .LBB17_1329
; %bb.1326:
	v_cmp_eq_u16_e32 vcc, 29, v9
	s_cbranch_vccz .LBB17_1328
; %bb.1327:
	global_load_dwordx2 v[6:7], v[4:5], off
	s_mov_b64 s[2:3], 0
	s_mov_b64 s[18:19], -1
	s_mov_b64 s[20:21], 0
	s_waitcnt vmcnt(0)
	v_ffbh_u32_e32 v3, v7
	v_min_u32_e32 v3, 32, v3
	v_lshlrev_b64 v[6:7], v3, v[6:7]
	v_min_u32_e32 v6, 1, v6
	v_or_b32_e32 v6, v7, v6
	v_cvt_f32_u32_e32 v6, v6
	v_sub_u32_e32 v3, 32, v3
	v_ldexp_f32 v3, v6, v3
	s_branch .LBB17_1330
.LBB17_1328:
	s_mov_b64 s[2:3], -1
                                        ; implicit-def: $vgpr3
.LBB17_1329:
	s_mov_b64 s[20:21], 0
.LBB17_1330:
	s_and_b64 vcc, exec, s[20:21]
	s_cbranch_vccz .LBB17_1348
; %bb.1331:
	v_cmp_gt_i16_e32 vcc, 27, v9
	s_cbranch_vccnz .LBB17_1334
; %bb.1332:
	v_cmp_lt_i16_e32 vcc, 27, v9
	s_cbranch_vccz .LBB17_1335
; %bb.1333:
	global_load_dword v3, v[4:5], off
	s_mov_b64 s[18:19], 0
	s_waitcnt vmcnt(0)
	v_cvt_f32_u32_e32 v3, v3
	s_branch .LBB17_1336
.LBB17_1334:
	s_mov_b64 s[18:19], -1
                                        ; implicit-def: $vgpr3
	s_branch .LBB17_1339
.LBB17_1335:
	s_mov_b64 s[18:19], -1
                                        ; implicit-def: $vgpr3
.LBB17_1336:
	s_andn2_b64 vcc, exec, s[18:19]
	s_cbranch_vccnz .LBB17_1338
; %bb.1337:
	global_load_ushort v3, v[4:5], off
	s_waitcnt vmcnt(0)
	v_cvt_f32_u32_e32 v3, v3
.LBB17_1338:
	s_mov_b64 s[18:19], 0
.LBB17_1339:
	s_andn2_b64 vcc, exec, s[18:19]
	s_cbranch_vccnz .LBB17_1347
; %bb.1340:
	global_load_ubyte v6, v[4:5], off
	s_movk_i32 s18, 0x7f
                                        ; implicit-def: $sgpr24
	s_waitcnt vmcnt(0)
	v_cmp_lt_i16_e32 vcc, s18, v6
	s_mov_b64 s[18:19], 0
	s_and_saveexec_b64 s[20:21], vcc
	s_xor_b64 s[20:21], exec, s[20:21]
	s_cbranch_execz .LBB17_1361
; %bb.1341:
	s_movk_i32 s18, 0x80
	v_cmp_eq_u16_e32 vcc, s18, v6
	s_mov_b64 s[18:19], -1
                                        ; implicit-def: $sgpr24
	s_and_saveexec_b64 s[22:23], vcc
; %bb.1342:
	s_mov_b32 s24, 0x7f800001
	s_xor_b64 s[18:19], exec, -1
; %bb.1343:
	s_or_b64 exec, exec, s[22:23]
	s_and_b64 s[18:19], s[18:19], exec
	s_or_saveexec_b64 s[20:21], s[20:21]
	v_mov_b32_e32 v3, s24
	s_xor_b64 exec, exec, s[20:21]
	s_cbranch_execnz .LBB17_1362
.LBB17_1344:
	s_or_b64 exec, exec, s[20:21]
	s_and_saveexec_b64 s[20:21], s[18:19]
	s_cbranch_execz .LBB17_1346
.LBB17_1345:
	v_lshlrev_b32_e32 v3, 24, v6
	v_and_b32_e32 v6, 0xffff, v6
	v_and_b32_e32 v7, 7, v6
	v_ffbh_u32_e32 v12, v7
	v_min_u32_e32 v12, 32, v12
	v_subrev_u32_e32 v13, 28, v12
	v_bfe_u32 v11, v6, 3, 4
	v_lshlrev_b32_e32 v6, v13, v6
	v_sub_u32_e32 v12, 29, v12
	v_and_b32_e32 v6, 7, v6
	v_cmp_eq_u32_e32 vcc, 0, v11
	v_cndmask_b32_e32 v11, v11, v12, vcc
	v_cndmask_b32_e32 v6, v7, v6, vcc
	v_mov_b32_e32 v7, 0x3b800000
	v_lshlrev_b32_e32 v6, 20, v6
	v_and_b32_e32 v3, 0x80000000, v3
	v_lshl_add_u32 v7, v11, 23, v7
	v_or3_b32 v3, v3, v7, v6
.LBB17_1346:
	s_or_b64 exec, exec, s[20:21]
.LBB17_1347:
	s_mov_b64 s[18:19], -1
.LBB17_1348:
	s_mov_b64 s[20:21], 0
.LBB17_1349:
	s_and_b64 vcc, exec, s[20:21]
	s_cbranch_vccz .LBB17_1382
; %bb.1350:
	v_cmp_lt_i16_e32 vcc, 22, v9
	s_cbranch_vccz .LBB17_1360
; %bb.1351:
	v_cmp_gt_i16_e32 vcc, 24, v9
	s_cbranch_vccnz .LBB17_1363
; %bb.1352:
	v_cmp_lt_i16_e32 vcc, 24, v9
	s_cbranch_vccz .LBB17_1364
; %bb.1353:
	global_load_ubyte v6, v[4:5], off
	s_movk_i32 s16, 0x7f
                                        ; implicit-def: $sgpr22
	s_waitcnt vmcnt(0)
	v_cmp_lt_i16_e32 vcc, s16, v6
	s_mov_b64 s[16:17], 0
	s_and_saveexec_b64 s[18:19], vcc
	s_xor_b64 s[18:19], exec, s[18:19]
	s_cbranch_execz .LBB17_1376
; %bb.1354:
	s_movk_i32 s16, 0x80
	v_cmp_eq_u16_e32 vcc, s16, v6
	s_mov_b64 s[16:17], -1
                                        ; implicit-def: $sgpr22
	s_and_saveexec_b64 s[20:21], vcc
; %bb.1355:
	s_mov_b32 s22, 0x7f800001
	s_xor_b64 s[16:17], exec, -1
; %bb.1356:
	s_or_b64 exec, exec, s[20:21]
	s_and_b64 s[16:17], s[16:17], exec
	s_or_saveexec_b64 s[18:19], s[18:19]
	v_mov_b32_e32 v3, s22
	s_xor_b64 exec, exec, s[18:19]
	s_cbranch_execnz .LBB17_1377
.LBB17_1357:
	s_or_b64 exec, exec, s[18:19]
	s_and_saveexec_b64 s[18:19], s[16:17]
	s_cbranch_execz .LBB17_1359
.LBB17_1358:
	v_lshlrev_b32_e32 v3, 24, v6
	v_and_b32_e32 v6, 0xffff, v6
	v_and_b32_e32 v7, 3, v6
	v_ffbh_u32_e32 v12, v7
	v_min_u32_e32 v12, 32, v12
	v_subrev_u32_e32 v13, 29, v12
	v_bfe_u32 v11, v6, 2, 5
	v_lshlrev_b32_e32 v6, v13, v6
	v_sub_u32_e32 v12, 30, v12
	v_and_b32_e32 v6, 3, v6
	v_cmp_eq_u32_e32 vcc, 0, v11
	v_cndmask_b32_e32 v11, v11, v12, vcc
	v_cndmask_b32_e32 v6, v7, v6, vcc
	v_mov_b32_e32 v7, 0x37800000
	v_lshlrev_b32_e32 v6, 21, v6
	v_and_b32_e32 v3, 0x80000000, v3
	v_lshl_add_u32 v7, v11, 23, v7
	v_or3_b32 v3, v3, v7, v6
.LBB17_1359:
	s_or_b64 exec, exec, s[18:19]
	s_mov_b64 s[16:17], 0
	s_branch .LBB17_1365
.LBB17_1360:
	s_mov_b64 s[16:17], -1
                                        ; implicit-def: $vgpr3
	s_branch .LBB17_1371
.LBB17_1361:
	s_or_saveexec_b64 s[20:21], s[20:21]
	v_mov_b32_e32 v3, s24
	s_xor_b64 exec, exec, s[20:21]
	s_cbranch_execz .LBB17_1344
.LBB17_1362:
	v_cmp_ne_u16_e32 vcc, 0, v6
	s_andn2_b64 s[18:19], s[18:19], exec
	s_and_b64 s[22:23], vcc, exec
	v_mov_b32_e32 v3, 0
	s_or_b64 s[18:19], s[18:19], s[22:23]
	s_or_b64 exec, exec, s[20:21]
	s_and_saveexec_b64 s[20:21], s[18:19]
	s_cbranch_execnz .LBB17_1345
	s_branch .LBB17_1346
.LBB17_1363:
	s_mov_b64 s[16:17], -1
                                        ; implicit-def: $vgpr3
	s_branch .LBB17_1368
.LBB17_1364:
	s_mov_b64 s[16:17], -1
                                        ; implicit-def: $vgpr3
.LBB17_1365:
	s_and_b64 vcc, exec, s[16:17]
	s_cbranch_vccz .LBB17_1367
; %bb.1366:
	global_load_ubyte v3, v[4:5], off
	s_mov_b32 s16, 0x7f800000
	s_waitcnt vmcnt(0)
	v_lshlrev_b32_e32 v3, 24, v3
	v_and_b32_e32 v6, 0x7f000000, v3
	v_ffbh_u32_e32 v7, v6
	v_min_u32_e32 v7, 32, v7
	v_sub_u32_e64 v7, v7, 4 clamp
	v_lshlrev_b32_e32 v12, v7, v6
	v_lshlrev_b32_e32 v7, 23, v7
	v_lshrrev_b32_e32 v12, 4, v12
	v_add_u32_e32 v11, 0x1000000, v6
	v_sub_u32_e32 v7, v12, v7
	v_ashrrev_i32_e32 v11, 8, v11
	v_add_u32_e32 v7, 0x3c000000, v7
	v_and_or_b32 v7, v11, s16, v7
	v_cmp_ne_u32_e32 vcc, 0, v6
	v_cndmask_b32_e32 v6, 0, v7, vcc
	s_brev_b32 s16, 1
	v_and_or_b32 v3, v3, s16, v6
.LBB17_1367:
	s_mov_b64 s[16:17], 0
.LBB17_1368:
	s_andn2_b64 vcc, exec, s[16:17]
	s_cbranch_vccnz .LBB17_1370
; %bb.1369:
	global_load_ubyte v3, v[4:5], off
	s_movk_i32 s16, 0x7f00
	s_brev_b32 s17, 16
	s_waitcnt vmcnt(0)
	v_lshlrev_b16_e32 v6, 8, v3
	v_lshlrev_b32_e32 v3, 25, v3
	v_lshrrev_b32_e32 v7, 4, v3
	v_and_or_b32 v11, v6, s16, 0.5
	v_or_b32_e32 v7, 0x70000000, v7
	v_add_f32_e32 v11, -0.5, v11
	v_mul_f32_e32 v7, 0x7800000, v7
	v_cmp_gt_u32_e32 vcc, s17, v3
	v_bfe_i32 v6, v6, 0, 16
	v_cndmask_b32_e32 v3, v7, v11, vcc
	s_brev_b32 s16, 1
	v_and_or_b32 v3, v6, s16, v3
.LBB17_1370:
	s_mov_b64 s[16:17], 0
	s_mov_b64 s[18:19], -1
.LBB17_1371:
	s_andn2_b64 vcc, exec, s[16:17]
	s_mov_b64 s[16:17], 0
	s_cbranch_vccnz .LBB17_1382
; %bb.1372:
	v_cmp_lt_i16_e32 vcc, 14, v9
	s_cbranch_vccz .LBB17_1375
; %bb.1373:
	v_cmp_eq_u16_e32 vcc, 15, v9
	s_cbranch_vccz .LBB17_1378
; %bb.1374:
	global_load_ushort v3, v[4:5], off
	s_mov_b64 s[2:3], 0
	s_mov_b64 s[18:19], -1
	s_waitcnt vmcnt(0)
	v_lshlrev_b32_e32 v3, 16, v3
	s_branch .LBB17_1379
.LBB17_1375:
	s_mov_b64 s[20:21], -1
                                        ; implicit-def: $vgpr3
	s_branch .LBB17_1380
.LBB17_1376:
	s_or_saveexec_b64 s[18:19], s[18:19]
	v_mov_b32_e32 v3, s22
	s_xor_b64 exec, exec, s[18:19]
	s_cbranch_execz .LBB17_1357
.LBB17_1377:
	v_cmp_ne_u16_e32 vcc, 0, v6
	s_andn2_b64 s[16:17], s[16:17], exec
	s_and_b64 s[20:21], vcc, exec
	v_mov_b32_e32 v3, 0
	s_or_b64 s[16:17], s[16:17], s[20:21]
	s_or_b64 exec, exec, s[18:19]
	s_and_saveexec_b64 s[18:19], s[16:17]
	s_cbranch_execnz .LBB17_1358
	s_branch .LBB17_1359
.LBB17_1378:
	s_mov_b64 s[2:3], -1
                                        ; implicit-def: $vgpr3
.LBB17_1379:
	s_mov_b64 s[20:21], 0
.LBB17_1380:
	s_and_b64 vcc, exec, s[20:21]
	s_cbranch_vccz .LBB17_1382
; %bb.1381:
	v_cmp_ne_u16_e64 s[2:3], 11, v9
	s_mov_b64 s[16:17], -1
                                        ; implicit-def: $vgpr3
.LBB17_1382:
	s_and_b64 vcc, exec, s[2:3]
	s_cbranch_vccnz .LBB17_1449
; %bb.1383:
	s_andn2_b64 vcc, exec, s[16:17]
	s_cbranch_vccnz .LBB17_1385
.LBB17_1384:
	global_load_ubyte v3, v[4:5], off
	s_mov_b64 s[18:19], -1
	s_waitcnt vmcnt(0)
	v_cmp_ne_u16_e32 vcc, 0, v3
	v_cndmask_b32_e64 v3, 0, 1.0, vcc
.LBB17_1385:
	s_branch .LBB17_1313
.LBB17_1386:
	v_cmp_gt_i16_e32 vcc, 5, v9
	s_cbranch_vccnz .LBB17_1391
; %bb.1387:
	v_cmp_gt_i16_e32 vcc, 8, v9
	s_cbranch_vccnz .LBB17_1392
; %bb.1388:
	;; [unrolled: 3-line block ×3, first 2 shown]
	v_cmp_lt_i16_e32 vcc, 9, v9
	s_cbranch_vccz .LBB17_1394
; %bb.1390:
	global_load_dwordx2 v[6:7], v[4:5], off
	s_mov_b64 s[2:3], 0
	s_waitcnt vmcnt(0)
	v_cvt_f32_f64_e32 v3, v[6:7]
	s_branch .LBB17_1395
.LBB17_1391:
	s_mov_b64 s[2:3], -1
                                        ; implicit-def: $vgpr3
	s_branch .LBB17_1413
.LBB17_1392:
	s_mov_b64 s[2:3], -1
                                        ; implicit-def: $vgpr3
	s_branch .LBB17_1401
.LBB17_1393:
	s_mov_b64 s[2:3], -1
                                        ; implicit-def: $vgpr3
	s_branch .LBB17_1398
.LBB17_1394:
	s_mov_b64 s[2:3], -1
                                        ; implicit-def: $vgpr3
.LBB17_1395:
	s_andn2_b64 vcc, exec, s[2:3]
	s_cbranch_vccnz .LBB17_1397
; %bb.1396:
	global_load_dword v3, v[4:5], off
.LBB17_1397:
	s_mov_b64 s[2:3], 0
.LBB17_1398:
	s_andn2_b64 vcc, exec, s[2:3]
	s_cbranch_vccnz .LBB17_1400
; %bb.1399:
	global_load_dword v3, v[4:5], off
	s_waitcnt vmcnt(0)
	v_cvt_f32_f16_e32 v3, v3
.LBB17_1400:
	s_mov_b64 s[2:3], 0
.LBB17_1401:
	s_andn2_b64 vcc, exec, s[2:3]
	s_cbranch_vccnz .LBB17_1412
; %bb.1402:
	v_cmp_gt_i16_e32 vcc, 6, v9
	s_cbranch_vccnz .LBB17_1405
; %bb.1403:
	v_cmp_lt_i16_e32 vcc, 6, v9
	s_cbranch_vccz .LBB17_1406
; %bb.1404:
	global_load_dwordx2 v[6:7], v[4:5], off
	s_mov_b64 s[2:3], 0
	s_waitcnt vmcnt(0)
	v_cvt_f32_f64_e32 v3, v[6:7]
	s_branch .LBB17_1407
.LBB17_1405:
	s_mov_b64 s[2:3], -1
                                        ; implicit-def: $vgpr3
	s_branch .LBB17_1410
.LBB17_1406:
	s_mov_b64 s[2:3], -1
                                        ; implicit-def: $vgpr3
.LBB17_1407:
	s_andn2_b64 vcc, exec, s[2:3]
	s_cbranch_vccnz .LBB17_1409
; %bb.1408:
	global_load_dword v3, v[4:5], off
.LBB17_1409:
	s_mov_b64 s[2:3], 0
.LBB17_1410:
	s_andn2_b64 vcc, exec, s[2:3]
	s_cbranch_vccnz .LBB17_1412
; %bb.1411:
	global_load_ushort v3, v[4:5], off
	s_waitcnt vmcnt(0)
	v_cvt_f32_f16_e32 v3, v3
.LBB17_1412:
	s_mov_b64 s[2:3], 0
.LBB17_1413:
	s_andn2_b64 vcc, exec, s[2:3]
	s_cbranch_vccnz .LBB17_1433
; %bb.1414:
	v_cmp_gt_i16_e32 vcc, 2, v9
	s_cbranch_vccnz .LBB17_1418
; %bb.1415:
	v_cmp_gt_i16_e32 vcc, 3, v9
	s_cbranch_vccnz .LBB17_1419
; %bb.1416:
	v_cmp_lt_i16_e32 vcc, 3, v9
	s_cbranch_vccz .LBB17_1420
; %bb.1417:
	global_load_dwordx2 v[6:7], v[4:5], off
	s_mov_b64 s[2:3], 0
	s_waitcnt vmcnt(0)
	v_xor_b32_e32 v11, v6, v7
	v_ffbh_i32_e32 v3, v7
	v_ashrrev_i32_e32 v11, 31, v11
	v_add_u32_e32 v3, -1, v3
	v_add_u32_e32 v11, 32, v11
	v_min_u32_e32 v3, v3, v11
	v_lshlrev_b64 v[6:7], v3, v[6:7]
	v_min_u32_e32 v6, 1, v6
	v_or_b32_e32 v6, v7, v6
	v_cvt_f32_i32_e32 v6, v6
	v_sub_u32_e32 v3, 32, v3
	v_ldexp_f32 v3, v6, v3
	s_branch .LBB17_1421
.LBB17_1418:
	s_mov_b64 s[2:3], -1
                                        ; implicit-def: $vgpr3
	s_branch .LBB17_1427
.LBB17_1419:
	s_mov_b64 s[2:3], -1
                                        ; implicit-def: $vgpr3
	s_branch .LBB17_1424
.LBB17_1420:
	s_mov_b64 s[2:3], -1
                                        ; implicit-def: $vgpr3
.LBB17_1421:
	s_andn2_b64 vcc, exec, s[2:3]
	s_cbranch_vccnz .LBB17_1423
; %bb.1422:
	global_load_dword v3, v[4:5], off
	s_waitcnt vmcnt(0)
	v_cvt_f32_i32_e32 v3, v3
.LBB17_1423:
	s_mov_b64 s[2:3], 0
.LBB17_1424:
	s_andn2_b64 vcc, exec, s[2:3]
	s_cbranch_vccnz .LBB17_1426
; %bb.1425:
	global_load_sshort v3, v[4:5], off
	s_waitcnt vmcnt(0)
	v_cvt_f32_i32_e32 v3, v3
.LBB17_1426:
	s_mov_b64 s[2:3], 0
.LBB17_1427:
	s_andn2_b64 vcc, exec, s[2:3]
	s_cbranch_vccnz .LBB17_1433
; %bb.1428:
	v_cmp_lt_i16_e32 vcc, 0, v9
	s_cbranch_vccz .LBB17_1430
; %bb.1429:
	global_load_sbyte v3, v[4:5], off
	s_mov_b64 s[2:3], 0
	s_waitcnt vmcnt(0)
	v_cvt_f32_i32_e32 v3, v3
	s_branch .LBB17_1431
.LBB17_1430:
	s_mov_b64 s[2:3], -1
                                        ; implicit-def: $vgpr3
.LBB17_1431:
	s_andn2_b64 vcc, exec, s[2:3]
	s_cbranch_vccnz .LBB17_1433
; %bb.1432:
	global_load_ubyte v3, v[4:5], off
	s_waitcnt vmcnt(0)
	v_cvt_f32_ubyte0_e32 v3, v3
.LBB17_1433:
.LBB17_1434:
	s_mov_b32 s2, 0x41000000
	s_waitcnt vmcnt(0)
	v_cmp_le_f32_e64 s[2:3], |v3|, s2
                                        ; implicit-def: $vgpr4
	s_and_saveexec_b64 s[16:17], s[2:3]
	s_xor_b64 s[2:3], exec, s[16:17]
	s_cbranch_execz .LBB17_1436
; %bb.1435:
	v_fma_f32 v4, |v3|, 0.5, -2.0
	v_mov_b32_e32 v5, 0x24199b15
	v_fmac_f32_e32 v5, 0xa2a2e5b9, v4
	v_mov_b32_e32 v6, 0x22a2e5b9
	v_fmac_f32_e32 v6, v4, v5
	v_add_f32_e32 v6, 0xa58c275c, v6
	v_fma_f32 v5, v4, v6, -v5
	v_add_f32_e32 v5, 0x26f736c5, v5
	v_fma_f32 v6, v4, v5, -v6
	;; [unrolled: 2-line block ×22, first 2 shown]
	v_add_f32_e32 v6, 0xbcc274f8, v6
	s_mov_b32 s16, 0x3fb8aa3b
	v_fma_f32 v5, v4, v6, -v5
	v_mul_f32_e64 v7, |v3|, s16
	v_add_f32_e32 v5, 0x3d49f456, v5
	v_rndne_f32_e32 v11, v7
	v_fma_f32 v6, v4, v5, -v6
	v_sub_f32_e32 v12, v7, v11
	v_fma_f32 v7, |v3|, s16, -v7
	s_mov_b32 s16, 0x32a5705f
	v_add_f32_e32 v6, 0xbdc25b82, v6
	v_fma_f32 v7, |v3|, s16, v7
	v_fma_f32 v5, v4, v6, -v5
	v_add_f32_e32 v7, v12, v7
	v_add_f32_e32 v5, 0x3e2fbd64, v5
	v_exp_f32_e32 v7, v7
	v_cvt_i32_f32_e32 v11, v11
	v_fma_f32 v6, v4, v5, -v6
	v_add_f32_e32 v6, 0xbe9bff5e, v6
	v_fma_f32 v4, v4, v6, -v5
	s_mov_b32 s16, 0xc2ce8ed0
	v_add_f32_e32 v4, 0x3f2d4275, v4
	v_ldexp_f32 v6, v7, v11
	v_cmp_nlt_f32_e64 vcc, |v3|, s16
	s_mov_b32 s16, 0x42b17218
	v_cndmask_b32_e32 v6, 0, v6, vcc
	v_mov_b32_e32 v7, 0x7f800000
	v_cmp_ngt_f32_e64 vcc, |v3|, s16
	v_sub_f32_e32 v4, v4, v5
	v_cndmask_b32_e32 v3, v7, v6, vcc
	v_mul_f32_e32 v4, 0.5, v4
	v_mul_f32_e32 v4, v3, v4
                                        ; implicit-def: $vgpr3
.LBB17_1436:
	s_andn2_saveexec_b64 s[16:17], s[2:3]
	s_cbranch_execz .LBB17_1438
; %bb.1437:
	v_and_b32_e32 v4, 0x7fffffff, v3
	s_mov_b32 s18, 0x42000000
	v_div_scale_f32 v5, s[2:3], v4, v4, s18
	v_rcp_f32_e32 v6, v5
	v_div_scale_f32 v4, vcc, s18, v4, s18
	s_mov_b32 s2, 0x3fb8aa3b
	v_fma_f32 v7, -v5, v6, 1.0
	v_fmac_f32_e32 v6, v7, v6
	v_mul_f32_e32 v7, v4, v6
	v_fma_f32 v11, -v5, v7, v4
	v_fmac_f32_e32 v7, v11, v6
	v_fma_f32 v4, -v5, v7, v4
	v_div_fmas_f32 v4, v4, v6, v7
	v_div_fixup_f32 v4, v4, |v3|, s18
	v_add_f32_e32 v4, -2.0, v4
	v_mov_b32_e32 v5, 0xa2b236d3
	v_fmac_f32_e32 v5, 0xa3056dbb, v4
	v_mov_b32_e32 v6, 0x23056dbb
	v_fmac_f32_e32 v6, v4, v5
	v_add_f32_e32 v6, 0x244df0c1, v6
	v_fma_f32 v5, v4, v6, -v5
	v_add_f32_e32 v5, 0x241f9ee8, v5
	v_fma_f32 v6, v4, v5, -v6
	;; [unrolled: 2-line block ×17, first 2 shown]
	v_add_f32_e32 v5, 0x32c2b494, v5
	v_mul_f32_e64 v7, |v3|, s2
	v_fma_f32 v6, v4, v5, -v6
	v_rndne_f32_e32 v11, v7
	v_add_f32_e32 v6, 0x345c003f, v6
	v_sub_f32_e32 v12, v7, v11
	v_fma_f32 v7, |v3|, s2, -v7
	s_mov_b32 s2, 0x32a5705f
	v_fma_f32 v5, v4, v6, -v5
	v_fma_f32 v7, |v3|, s2, v7
	v_add_f32_e32 v5, 0x3642095e, v5
	v_add_f32_e32 v7, v12, v7
	v_fma_f32 v6, v4, v5, -v6
	v_exp_f32_e32 v7, v7
	v_cvt_i32_f32_e32 v11, v11
	v_add_f32_e32 v6, 0x38907d1c, v6
	v_fma_f32 v5, v4, v6, -v5
	v_add_f32_e32 v5, 0x3b5ccc65, v5
	s_mov_b32 s2, 0xc2ce8ed0
	v_fma_f32 v4, v4, v5, -v6
	v_ldexp_f32 v5, v7, v11
	v_cmp_nlt_f32_e64 vcc, |v3|, s2
	s_mov_b32 s2, 0x42b17218
	v_cndmask_b32_e32 v5, 0, v5, vcc
	v_mov_b32_e32 v7, 0x7f800000
	v_cmp_ngt_f32_e64 vcc, |v3|, s2
	s_mov_b32 s2, 0xf800000
	s_mov_b32 s3, 0x4f800000
	v_cndmask_b32_e32 v5, v7, v5, vcc
	v_mul_f32_e64 v7, |v3|, s3
	v_cmp_lt_f32_e64 vcc, |v3|, s2
	v_cndmask_b32_e64 v3, |v3|, v7, vcc
	v_sqrt_f32_e32 v7, v3
	v_add_f32_e32 v4, 0x3f4df315, v4
	v_sub_f32_e32 v4, v4, v6
	v_mul_f32_e32 v4, 0.5, v4
	v_mul_f32_e32 v4, v5, v4
	v_add_u32_e32 v5, -1, v7
	v_fma_f32 v6, -v5, v7, v3
	v_cmp_ge_f32_e64 s[2:3], 0, v6
	v_add_u32_e32 v6, 1, v7
	v_cndmask_b32_e64 v5, v7, v5, s[2:3]
	v_fma_f32 v7, -v6, v7, v3
	v_cmp_lt_f32_e64 s[2:3], 0, v7
	v_cndmask_b32_e64 v5, v5, v6, s[2:3]
	v_mul_f32_e32 v6, 0x37800000, v5
	v_cndmask_b32_e32 v5, v5, v6, vcc
	v_mov_b32_e32 v6, 0x260
	v_cmp_class_f32_e32 vcc, v3, v6
	v_cndmask_b32_e32 v3, v5, v3, vcc
	v_div_scale_f32 v5, s[2:3], v3, v3, v4
	v_rcp_f32_e32 v6, v5
	v_fma_f32 v7, -v5, v6, 1.0
	v_fmac_f32_e32 v6, v7, v6
	v_div_scale_f32 v7, vcc, v4, v3, v4
	v_mul_f32_e32 v11, v7, v6
	v_fma_f32 v12, -v5, v11, v7
	v_fmac_f32_e32 v11, v12, v6
	v_fma_f32 v5, -v5, v11, v7
	v_div_fmas_f32 v5, v5, v6, v11
	v_div_fixup_f32 v4, v5, v3, v4
.LBB17_1438:
	s_or_b64 exec, exec, s[16:17]
	v_add_u32_e32 v1, s13, v1
	v_ashrrev_i32_e32 v3, 31, v1
	v_mov_b32_e32 v5, s11
	v_add_co_u32_e32 v6, vcc, s10, v1
	v_addc_co_u32_e32 v7, vcc, v5, v3, vcc
	s_and_b64 vcc, exec, s[0:1]
	s_cbranch_vccnz .LBB17_1445
; %bb.1439:
	v_cmp_lt_i16_e32 vcc, 25, v9
	s_mov_b64 s[2:3], 0
	s_cbranch_vccz .LBB17_1446
; %bb.1440:
	v_cmp_lt_i16_e32 vcc, 28, v9
	s_cbranch_vccz .LBB17_1447
; %bb.1441:
	v_cmp_lt_i16_e32 vcc, 43, v9
	;; [unrolled: 3-line block ×3, first 2 shown]
	s_cbranch_vccz .LBB17_1450
; %bb.1443:
	v_cmp_eq_u16_e32 vcc, 46, v9
	s_mov_b64 s[16:17], 0
	s_cbranch_vccz .LBB17_1451
; %bb.1444:
	global_load_dword v1, v[6:7], off
	s_mov_b64 s[0:1], 0
	s_mov_b64 s[10:11], -1
	s_waitcnt vmcnt(0)
	v_lshlrev_b32_e32 v1, 16, v1
	s_branch .LBB17_1452
.LBB17_1445:
	s_mov_b64 s[0:1], -1
	s_mov_b64 s[10:11], 0
                                        ; implicit-def: $vgpr1
	s_branch .LBB17_1518
.LBB17_1446:
	s_mov_b64 s[16:17], -1
	s_mov_b64 s[10:11], 0
	s_mov_b64 s[0:1], 0
                                        ; implicit-def: $vgpr1
	s_branch .LBB17_1481
.LBB17_1447:
	s_mov_b64 s[16:17], -1
	s_mov_b64 s[10:11], 0
	s_mov_b64 s[0:1], 0
                                        ; implicit-def: $vgpr1
	s_branch .LBB17_1462
.LBB17_1448:
	s_mov_b64 s[16:17], -1
	s_mov_b64 s[10:11], 0
	s_mov_b64 s[0:1], 0
                                        ; implicit-def: $vgpr1
	s_branch .LBB17_1457
.LBB17_1449:
	s_trap 2
	s_or_b64 s[14:15], s[14:15], exec
                                        ; implicit-def: $vgpr3
	s_cbranch_execz .LBB17_1384
	s_branch .LBB17_1385
.LBB17_1450:
	s_mov_b64 s[16:17], -1
	s_mov_b64 s[10:11], 0
	s_mov_b64 s[0:1], 0
                                        ; implicit-def: $vgpr1
	s_branch .LBB17_1452
.LBB17_1451:
	s_mov_b64 s[0:1], -1
                                        ; implicit-def: $vgpr1
	s_mov_b64 s[10:11], 0
.LBB17_1452:
	s_and_b64 vcc, exec, s[16:17]
	s_cbranch_vccz .LBB17_1456
; %bb.1453:
	v_cmp_eq_u16_e32 vcc, 44, v9
	s_cbranch_vccz .LBB17_1455
; %bb.1454:
	global_load_ubyte v1, v[6:7], off
	s_movk_i32 s10, 0xff
	v_mov_b32_e32 v3, 0x7f800001
	v_mov_b32_e32 v5, 0x400000
	s_mov_b64 s[0:1], 0
	s_waitcnt vmcnt(0)
	v_lshlrev_b32_e32 v11, 23, v1
	v_cmp_ne_u32_e32 vcc, s10, v1
	v_cndmask_b32_e32 v3, v3, v11, vcc
	v_cmp_ne_u32_e32 vcc, 0, v1
	v_cndmask_b32_e32 v1, v5, v3, vcc
	s_mov_b64 s[10:11], -1
	s_branch .LBB17_1456
.LBB17_1455:
	s_mov_b64 s[0:1], -1
                                        ; implicit-def: $vgpr1
.LBB17_1456:
	s_mov_b64 s[16:17], 0
.LBB17_1457:
	s_and_b64 vcc, exec, s[16:17]
	s_cbranch_vccz .LBB17_1461
; %bb.1458:
	v_cmp_eq_u16_e32 vcc, 29, v9
	s_cbranch_vccz .LBB17_1460
; %bb.1459:
	global_load_dwordx2 v[12:13], v[6:7], off
	s_mov_b64 s[0:1], 0
	s_mov_b64 s[10:11], -1
	s_mov_b64 s[16:17], 0
	s_waitcnt vmcnt(0)
	v_ffbh_u32_e32 v1, v13
	v_min_u32_e32 v1, 32, v1
	v_lshlrev_b64 v[12:13], v1, v[12:13]
	v_min_u32_e32 v3, 1, v12
	v_or_b32_e32 v3, v13, v3
	v_cvt_f32_u32_e32 v3, v3
	v_sub_u32_e32 v1, 32, v1
	v_ldexp_f32 v1, v3, v1
	s_branch .LBB17_1462
.LBB17_1460:
	s_mov_b64 s[0:1], -1
                                        ; implicit-def: $vgpr1
.LBB17_1461:
	s_mov_b64 s[16:17], 0
.LBB17_1462:
	s_and_b64 vcc, exec, s[16:17]
	s_cbranch_vccz .LBB17_1480
; %bb.1463:
	v_cmp_gt_i16_e32 vcc, 27, v9
	s_cbranch_vccnz .LBB17_1466
; %bb.1464:
	v_cmp_lt_i16_e32 vcc, 27, v9
	s_cbranch_vccz .LBB17_1467
; %bb.1465:
	global_load_dword v1, v[6:7], off
	s_mov_b64 s[10:11], 0
	s_waitcnt vmcnt(0)
	v_cvt_f32_u32_e32 v1, v1
	s_branch .LBB17_1468
.LBB17_1466:
	s_mov_b64 s[10:11], -1
                                        ; implicit-def: $vgpr1
	s_branch .LBB17_1471
.LBB17_1467:
	s_mov_b64 s[10:11], -1
                                        ; implicit-def: $vgpr1
.LBB17_1468:
	s_andn2_b64 vcc, exec, s[10:11]
	s_cbranch_vccnz .LBB17_1470
; %bb.1469:
	global_load_ushort v1, v[6:7], off
	s_waitcnt vmcnt(0)
	v_cvt_f32_u32_e32 v1, v1
.LBB17_1470:
	s_mov_b64 s[10:11], 0
.LBB17_1471:
	s_andn2_b64 vcc, exec, s[10:11]
	s_cbranch_vccnz .LBB17_1479
; %bb.1472:
	global_load_ubyte v3, v[6:7], off
	s_movk_i32 s10, 0x7f
                                        ; implicit-def: $sgpr13
	s_waitcnt vmcnt(0)
	v_cmp_lt_i16_e32 vcc, s10, v3
	s_mov_b64 s[10:11], 0
	s_and_saveexec_b64 s[16:17], vcc
	s_xor_b64 s[16:17], exec, s[16:17]
	s_cbranch_execz .LBB17_1493
; %bb.1473:
	s_movk_i32 s10, 0x80
	v_cmp_eq_u16_e32 vcc, s10, v3
	s_mov_b64 s[10:11], -1
                                        ; implicit-def: $sgpr13
	s_and_saveexec_b64 s[18:19], vcc
; %bb.1474:
	s_mov_b32 s13, 0x7f800001
	s_xor_b64 s[10:11], exec, -1
; %bb.1475:
	s_or_b64 exec, exec, s[18:19]
	s_and_b64 s[10:11], s[10:11], exec
	s_or_saveexec_b64 s[16:17], s[16:17]
	v_mov_b32_e32 v1, s13
	s_xor_b64 exec, exec, s[16:17]
	s_cbranch_execnz .LBB17_1494
.LBB17_1476:
	s_or_b64 exec, exec, s[16:17]
	s_and_saveexec_b64 s[16:17], s[10:11]
	s_cbranch_execz .LBB17_1478
.LBB17_1477:
	v_lshlrev_b32_e32 v1, 24, v3
	v_and_b32_e32 v3, 0xffff, v3
	v_and_b32_e32 v5, 7, v3
	v_ffbh_u32_e32 v12, v5
	v_min_u32_e32 v12, 32, v12
	v_subrev_u32_e32 v13, 28, v12
	v_bfe_u32 v11, v3, 3, 4
	v_lshlrev_b32_e32 v3, v13, v3
	v_sub_u32_e32 v12, 29, v12
	v_and_b32_e32 v3, 7, v3
	v_cmp_eq_u32_e32 vcc, 0, v11
	v_cndmask_b32_e32 v11, v11, v12, vcc
	v_cndmask_b32_e32 v3, v5, v3, vcc
	v_mov_b32_e32 v5, 0x3b800000
	v_lshlrev_b32_e32 v3, 20, v3
	v_and_b32_e32 v1, 0x80000000, v1
	v_lshl_add_u32 v5, v11, 23, v5
	v_or3_b32 v1, v1, v5, v3
.LBB17_1478:
	s_or_b64 exec, exec, s[16:17]
.LBB17_1479:
	s_mov_b64 s[10:11], -1
.LBB17_1480:
	s_mov_b64 s[16:17], 0
.LBB17_1481:
	s_and_b64 vcc, exec, s[16:17]
	s_cbranch_vccz .LBB17_1514
; %bb.1482:
	v_cmp_lt_i16_e32 vcc, 22, v9
	s_cbranch_vccz .LBB17_1492
; %bb.1483:
	v_cmp_gt_i16_e32 vcc, 24, v9
	s_cbranch_vccnz .LBB17_1495
; %bb.1484:
	v_cmp_lt_i16_e32 vcc, 24, v9
	s_cbranch_vccz .LBB17_1496
; %bb.1485:
	global_load_ubyte v3, v[6:7], off
	s_movk_i32 s2, 0x7f
                                        ; implicit-def: $sgpr13
	s_waitcnt vmcnt(0)
	v_cmp_lt_i16_e32 vcc, s2, v3
	s_mov_b64 s[2:3], 0
	s_and_saveexec_b64 s[10:11], vcc
	s_xor_b64 s[10:11], exec, s[10:11]
	s_cbranch_execz .LBB17_1508
; %bb.1486:
	s_movk_i32 s2, 0x80
	v_cmp_eq_u16_e32 vcc, s2, v3
	s_mov_b64 s[2:3], -1
                                        ; implicit-def: $sgpr13
	s_and_saveexec_b64 s[16:17], vcc
; %bb.1487:
	s_mov_b32 s13, 0x7f800001
	s_xor_b64 s[2:3], exec, -1
; %bb.1488:
	s_or_b64 exec, exec, s[16:17]
	s_and_b64 s[2:3], s[2:3], exec
	s_or_saveexec_b64 s[10:11], s[10:11]
	v_mov_b32_e32 v1, s13
	s_xor_b64 exec, exec, s[10:11]
	s_cbranch_execnz .LBB17_1509
.LBB17_1489:
	s_or_b64 exec, exec, s[10:11]
	s_and_saveexec_b64 s[10:11], s[2:3]
	s_cbranch_execz .LBB17_1491
.LBB17_1490:
	v_lshlrev_b32_e32 v1, 24, v3
	v_and_b32_e32 v3, 0xffff, v3
	v_and_b32_e32 v5, 3, v3
	v_ffbh_u32_e32 v12, v5
	v_min_u32_e32 v12, 32, v12
	v_subrev_u32_e32 v13, 29, v12
	v_bfe_u32 v11, v3, 2, 5
	v_lshlrev_b32_e32 v3, v13, v3
	v_sub_u32_e32 v12, 30, v12
	v_and_b32_e32 v3, 3, v3
	v_cmp_eq_u32_e32 vcc, 0, v11
	v_cndmask_b32_e32 v11, v11, v12, vcc
	v_cndmask_b32_e32 v3, v5, v3, vcc
	v_mov_b32_e32 v5, 0x37800000
	v_lshlrev_b32_e32 v3, 21, v3
	v_and_b32_e32 v1, 0x80000000, v1
	v_lshl_add_u32 v5, v11, 23, v5
	v_or3_b32 v1, v1, v5, v3
.LBB17_1491:
	s_or_b64 exec, exec, s[10:11]
	s_mov_b64 s[2:3], 0
	s_branch .LBB17_1497
.LBB17_1492:
	s_mov_b64 s[2:3], -1
                                        ; implicit-def: $vgpr1
	s_branch .LBB17_1503
.LBB17_1493:
	s_or_saveexec_b64 s[16:17], s[16:17]
	v_mov_b32_e32 v1, s13
	s_xor_b64 exec, exec, s[16:17]
	s_cbranch_execz .LBB17_1476
.LBB17_1494:
	v_cmp_ne_u16_e32 vcc, 0, v3
	s_andn2_b64 s[10:11], s[10:11], exec
	s_and_b64 s[18:19], vcc, exec
	v_mov_b32_e32 v1, 0
	s_or_b64 s[10:11], s[10:11], s[18:19]
	s_or_b64 exec, exec, s[16:17]
	s_and_saveexec_b64 s[16:17], s[10:11]
	s_cbranch_execnz .LBB17_1477
	s_branch .LBB17_1478
.LBB17_1495:
	s_mov_b64 s[2:3], -1
                                        ; implicit-def: $vgpr1
	s_branch .LBB17_1500
.LBB17_1496:
	s_mov_b64 s[2:3], -1
                                        ; implicit-def: $vgpr1
.LBB17_1497:
	s_and_b64 vcc, exec, s[2:3]
	s_cbranch_vccz .LBB17_1499
; %bb.1498:
	global_load_ubyte v1, v[6:7], off
	s_mov_b32 s2, 0x7f800000
	s_waitcnt vmcnt(0)
	v_lshlrev_b32_e32 v1, 24, v1
	v_and_b32_e32 v3, 0x7f000000, v1
	v_ffbh_u32_e32 v5, v3
	v_min_u32_e32 v5, 32, v5
	v_sub_u32_e64 v5, v5, 4 clamp
	v_lshlrev_b32_e32 v12, v5, v3
	v_lshlrev_b32_e32 v5, 23, v5
	v_lshrrev_b32_e32 v12, 4, v12
	v_add_u32_e32 v11, 0x1000000, v3
	v_sub_u32_e32 v5, v12, v5
	v_ashrrev_i32_e32 v11, 8, v11
	v_add_u32_e32 v5, 0x3c000000, v5
	v_and_or_b32 v5, v11, s2, v5
	v_cmp_ne_u32_e32 vcc, 0, v3
	v_cndmask_b32_e32 v3, 0, v5, vcc
	s_brev_b32 s2, 1
	v_and_or_b32 v1, v1, s2, v3
.LBB17_1499:
	s_mov_b64 s[2:3], 0
.LBB17_1500:
	s_andn2_b64 vcc, exec, s[2:3]
	s_cbranch_vccnz .LBB17_1502
; %bb.1501:
	global_load_ubyte v1, v[6:7], off
	s_movk_i32 s2, 0x7f00
	s_brev_b32 s3, 16
	s_waitcnt vmcnt(0)
	v_lshlrev_b16_e32 v3, 8, v1
	v_lshlrev_b32_e32 v1, 25, v1
	v_lshrrev_b32_e32 v5, 4, v1
	v_and_or_b32 v11, v3, s2, 0.5
	v_or_b32_e32 v5, 0x70000000, v5
	v_add_f32_e32 v11, -0.5, v11
	v_mul_f32_e32 v5, 0x7800000, v5
	v_cmp_gt_u32_e32 vcc, s3, v1
	v_bfe_i32 v3, v3, 0, 16
	v_cndmask_b32_e32 v1, v5, v11, vcc
	s_brev_b32 s2, 1
	v_and_or_b32 v1, v3, s2, v1
.LBB17_1502:
	s_mov_b64 s[2:3], 0
	s_mov_b64 s[10:11], -1
.LBB17_1503:
	s_andn2_b64 vcc, exec, s[2:3]
	s_mov_b64 s[2:3], 0
	s_cbranch_vccnz .LBB17_1514
; %bb.1504:
	v_cmp_lt_i16_e32 vcc, 14, v9
	s_cbranch_vccz .LBB17_1507
; %bb.1505:
	v_cmp_eq_u16_e32 vcc, 15, v9
	s_cbranch_vccz .LBB17_1510
; %bb.1506:
	global_load_ushort v1, v[6:7], off
	s_mov_b64 s[0:1], 0
	s_mov_b64 s[10:11], -1
	s_waitcnt vmcnt(0)
	v_lshlrev_b32_e32 v1, 16, v1
	s_branch .LBB17_1511
.LBB17_1507:
	s_mov_b64 s[16:17], -1
                                        ; implicit-def: $vgpr1
	s_branch .LBB17_1512
.LBB17_1508:
	s_or_saveexec_b64 s[10:11], s[10:11]
	v_mov_b32_e32 v1, s13
	s_xor_b64 exec, exec, s[10:11]
	s_cbranch_execz .LBB17_1489
.LBB17_1509:
	v_cmp_ne_u16_e32 vcc, 0, v3
	s_andn2_b64 s[2:3], s[2:3], exec
	s_and_b64 s[16:17], vcc, exec
	v_mov_b32_e32 v1, 0
	s_or_b64 s[2:3], s[2:3], s[16:17]
	s_or_b64 exec, exec, s[10:11]
	s_and_saveexec_b64 s[10:11], s[2:3]
	s_cbranch_execnz .LBB17_1490
	s_branch .LBB17_1491
.LBB17_1510:
	s_mov_b64 s[0:1], -1
                                        ; implicit-def: $vgpr1
.LBB17_1511:
	s_mov_b64 s[16:17], 0
.LBB17_1512:
	s_and_b64 vcc, exec, s[16:17]
	s_cbranch_vccz .LBB17_1514
; %bb.1513:
	v_cmp_ne_u16_e64 s[0:1], 11, v9
	s_mov_b64 s[2:3], -1
                                        ; implicit-def: $vgpr1
.LBB17_1514:
	s_and_b64 vcc, exec, s[0:1]
	s_cbranch_vccnz .LBB17_1628
; %bb.1515:
	s_andn2_b64 vcc, exec, s[2:3]
	s_cbranch_vccnz .LBB17_1517
.LBB17_1516:
	global_load_ubyte v1, v[6:7], off
	s_mov_b64 s[10:11], -1
	s_waitcnt vmcnt(0)
	v_cmp_ne_u16_e32 vcc, 0, v1
	v_cndmask_b32_e64 v1, 0, 1.0, vcc
.LBB17_1517:
	s_mov_b64 s[0:1], 0
.LBB17_1518:
	s_and_b64 vcc, exec, s[0:1]
	s_cbranch_vccz .LBB17_1567
; %bb.1519:
	v_cmp_gt_i16_e32 vcc, 5, v9
	s_cbranch_vccnz .LBB17_1524
; %bb.1520:
	v_cmp_gt_i16_e32 vcc, 8, v9
	s_cbranch_vccnz .LBB17_1525
	;; [unrolled: 3-line block ×3, first 2 shown]
; %bb.1522:
	v_cmp_lt_i16_e32 vcc, 9, v9
	s_cbranch_vccz .LBB17_1527
; %bb.1523:
	global_load_dwordx2 v[12:13], v[6:7], off
	s_mov_b64 s[0:1], 0
	s_waitcnt vmcnt(0)
	v_cvt_f32_f64_e32 v1, v[12:13]
	s_branch .LBB17_1528
.LBB17_1524:
	s_mov_b64 s[0:1], -1
                                        ; implicit-def: $vgpr1
	s_branch .LBB17_1546
.LBB17_1525:
	s_mov_b64 s[0:1], -1
                                        ; implicit-def: $vgpr1
	s_branch .LBB17_1534
.LBB17_1526:
	s_mov_b64 s[0:1], -1
                                        ; implicit-def: $vgpr1
	s_branch .LBB17_1531
.LBB17_1527:
	s_mov_b64 s[0:1], -1
                                        ; implicit-def: $vgpr1
.LBB17_1528:
	s_andn2_b64 vcc, exec, s[0:1]
	s_cbranch_vccnz .LBB17_1530
; %bb.1529:
	global_load_dword v1, v[6:7], off
.LBB17_1530:
	s_mov_b64 s[0:1], 0
.LBB17_1531:
	s_andn2_b64 vcc, exec, s[0:1]
	s_cbranch_vccnz .LBB17_1533
; %bb.1532:
	global_load_dword v1, v[6:7], off
	s_waitcnt vmcnt(0)
	v_cvt_f32_f16_e32 v1, v1
.LBB17_1533:
	s_mov_b64 s[0:1], 0
.LBB17_1534:
	s_andn2_b64 vcc, exec, s[0:1]
	s_cbranch_vccnz .LBB17_1545
; %bb.1535:
	v_cmp_gt_i16_e32 vcc, 6, v9
	s_cbranch_vccnz .LBB17_1538
; %bb.1536:
	v_cmp_lt_i16_e32 vcc, 6, v9
	s_cbranch_vccz .LBB17_1539
; %bb.1537:
	global_load_dwordx2 v[12:13], v[6:7], off
	s_mov_b64 s[0:1], 0
	s_waitcnt vmcnt(0)
	v_cvt_f32_f64_e32 v1, v[12:13]
	s_branch .LBB17_1540
.LBB17_1538:
	s_mov_b64 s[0:1], -1
                                        ; implicit-def: $vgpr1
	s_branch .LBB17_1543
.LBB17_1539:
	s_mov_b64 s[0:1], -1
                                        ; implicit-def: $vgpr1
.LBB17_1540:
	s_andn2_b64 vcc, exec, s[0:1]
	s_cbranch_vccnz .LBB17_1542
; %bb.1541:
	global_load_dword v1, v[6:7], off
.LBB17_1542:
	s_mov_b64 s[0:1], 0
.LBB17_1543:
	s_andn2_b64 vcc, exec, s[0:1]
	s_cbranch_vccnz .LBB17_1545
; %bb.1544:
	global_load_ushort v1, v[6:7], off
	s_waitcnt vmcnt(0)
	v_cvt_f32_f16_e32 v1, v1
.LBB17_1545:
	s_mov_b64 s[0:1], 0
.LBB17_1546:
	s_andn2_b64 vcc, exec, s[0:1]
	s_cbranch_vccnz .LBB17_1566
; %bb.1547:
	v_cmp_gt_i16_e32 vcc, 2, v9
	s_cbranch_vccnz .LBB17_1551
; %bb.1548:
	v_cmp_gt_i16_e32 vcc, 3, v9
	s_cbranch_vccnz .LBB17_1552
; %bb.1549:
	v_cmp_lt_i16_e32 vcc, 3, v9
	s_cbranch_vccz .LBB17_1553
; %bb.1550:
	global_load_dwordx2 v[12:13], v[6:7], off
	s_mov_b64 s[0:1], 0
	s_waitcnt vmcnt(0)
	v_xor_b32_e32 v3, v12, v13
	v_ffbh_i32_e32 v1, v13
	v_ashrrev_i32_e32 v3, 31, v3
	v_add_u32_e32 v1, -1, v1
	v_add_u32_e32 v3, 32, v3
	v_min_u32_e32 v1, v1, v3
	v_lshlrev_b64 v[12:13], v1, v[12:13]
	v_min_u32_e32 v3, 1, v12
	v_or_b32_e32 v3, v13, v3
	v_cvt_f32_i32_e32 v3, v3
	v_sub_u32_e32 v1, 32, v1
	v_ldexp_f32 v1, v3, v1
	s_branch .LBB17_1554
.LBB17_1551:
	s_mov_b64 s[0:1], -1
                                        ; implicit-def: $vgpr1
	s_branch .LBB17_1560
.LBB17_1552:
	s_mov_b64 s[0:1], -1
                                        ; implicit-def: $vgpr1
	s_branch .LBB17_1557
.LBB17_1553:
	s_mov_b64 s[0:1], -1
                                        ; implicit-def: $vgpr1
.LBB17_1554:
	s_andn2_b64 vcc, exec, s[0:1]
	s_cbranch_vccnz .LBB17_1556
; %bb.1555:
	global_load_dword v1, v[6:7], off
	s_waitcnt vmcnt(0)
	v_cvt_f32_i32_e32 v1, v1
.LBB17_1556:
	s_mov_b64 s[0:1], 0
.LBB17_1557:
	s_andn2_b64 vcc, exec, s[0:1]
	s_cbranch_vccnz .LBB17_1559
; %bb.1558:
	global_load_sshort v1, v[6:7], off
	s_waitcnt vmcnt(0)
	v_cvt_f32_i32_e32 v1, v1
.LBB17_1559:
	s_mov_b64 s[0:1], 0
.LBB17_1560:
	s_andn2_b64 vcc, exec, s[0:1]
	s_cbranch_vccnz .LBB17_1566
; %bb.1561:
	v_cmp_lt_i16_e32 vcc, 0, v9
	s_cbranch_vccz .LBB17_1563
; %bb.1562:
	global_load_sbyte v1, v[6:7], off
	s_mov_b64 s[0:1], 0
	s_waitcnt vmcnt(0)
	v_cvt_f32_i32_e32 v1, v1
	s_branch .LBB17_1564
.LBB17_1563:
	s_mov_b64 s[0:1], -1
                                        ; implicit-def: $vgpr1
.LBB17_1564:
	s_andn2_b64 vcc, exec, s[0:1]
	s_cbranch_vccnz .LBB17_1566
; %bb.1565:
	global_load_ubyte v1, v[6:7], off
	s_waitcnt vmcnt(0)
	v_cvt_f32_ubyte0_e32 v1, v1
.LBB17_1566:
	s_mov_b64 s[10:11], -1
.LBB17_1567:
	s_andn2_b64 vcc, exec, s[10:11]
	s_cbranch_vccnz .LBB17_1579
; %bb.1568:
	s_mov_b32 s0, 0x41000000
	s_waitcnt vmcnt(0)
	v_cmp_le_f32_e64 s[0:1], |v1|, s0
                                        ; implicit-def: $vgpr6
	s_and_saveexec_b64 s[2:3], s[0:1]
	s_xor_b64 s[0:1], exec, s[2:3]
	s_cbranch_execz .LBB17_1570
; %bb.1569:
	v_fma_f32 v3, |v1|, 0.5, -2.0
	v_mov_b32_e32 v5, 0x24199b15
	v_fmac_f32_e32 v5, 0xa2a2e5b9, v3
	v_mov_b32_e32 v6, 0x22a2e5b9
	v_fmac_f32_e32 v6, v3, v5
	v_add_f32_e32 v6, 0xa58c275c, v6
	v_fma_f32 v5, v3, v6, -v5
	v_add_f32_e32 v5, 0x26f736c5, v5
	v_fma_f32 v6, v3, v5, -v6
	;; [unrolled: 2-line block ×22, first 2 shown]
	v_add_f32_e32 v6, 0xbcc274f8, v6
	s_mov_b32 s2, 0x3fb8aa3b
	v_fma_f32 v5, v3, v6, -v5
	v_mul_f32_e64 v7, |v1|, s2
	v_add_f32_e32 v5, 0x3d49f456, v5
	v_rndne_f32_e32 v9, v7
	v_fma_f32 v6, v3, v5, -v6
	v_sub_f32_e32 v11, v7, v9
	v_fma_f32 v7, |v1|, s2, -v7
	s_mov_b32 s2, 0x32a5705f
	v_add_f32_e32 v6, 0xbdc25b82, v6
	v_fma_f32 v7, |v1|, s2, v7
	v_fma_f32 v5, v3, v6, -v5
	v_add_f32_e32 v7, v11, v7
	v_add_f32_e32 v5, 0x3e2fbd64, v5
	v_exp_f32_e32 v7, v7
	v_cvt_i32_f32_e32 v9, v9
	v_fma_f32 v6, v3, v5, -v6
	v_add_f32_e32 v6, 0xbe9bff5e, v6
	v_fma_f32 v3, v3, v6, -v5
	s_mov_b32 s2, 0xc2ce8ed0
	v_add_f32_e32 v3, 0x3f2d4275, v3
	v_ldexp_f32 v6, v7, v9
	v_cmp_nlt_f32_e64 vcc, |v1|, s2
	s_mov_b32 s2, 0x42b17218
	v_cndmask_b32_e32 v6, 0, v6, vcc
	v_mov_b32_e32 v7, 0x7f800000
	v_cmp_ngt_f32_e64 vcc, |v1|, s2
	v_sub_f32_e32 v3, v3, v5
	v_cndmask_b32_e32 v1, v7, v6, vcc
	v_mul_f32_e32 v3, 0.5, v3
	v_mul_f32_e32 v6, v1, v3
                                        ; implicit-def: $vgpr1
.LBB17_1570:
	s_andn2_saveexec_b64 s[2:3], s[0:1]
	s_cbranch_execz .LBB17_1572
; %bb.1571:
	v_and_b32_e32 v3, 0x7fffffff, v1
	s_mov_b32 s10, 0x42000000
	v_div_scale_f32 v5, s[0:1], v3, v3, s10
	v_rcp_f32_e32 v6, v5
	v_div_scale_f32 v3, vcc, s10, v3, s10
	s_mov_b32 s0, 0x3fb8aa3b
	v_fma_f32 v7, -v5, v6, 1.0
	v_fmac_f32_e32 v6, v7, v6
	v_mul_f32_e32 v7, v3, v6
	v_fma_f32 v9, -v5, v7, v3
	v_fmac_f32_e32 v7, v9, v6
	v_fma_f32 v3, -v5, v7, v3
	v_div_fmas_f32 v3, v3, v6, v7
	v_div_fixup_f32 v3, v3, |v1|, s10
	v_add_f32_e32 v3, -2.0, v3
	v_mov_b32_e32 v5, 0xa2b236d3
	v_fmac_f32_e32 v5, 0xa3056dbb, v3
	v_mov_b32_e32 v6, 0x23056dbb
	v_fmac_f32_e32 v6, v3, v5
	v_add_f32_e32 v6, 0x244df0c1, v6
	v_fma_f32 v5, v3, v6, -v5
	v_add_f32_e32 v5, 0x241f9ee8, v5
	v_fma_f32 v6, v3, v5, -v6
	;; [unrolled: 2-line block ×17, first 2 shown]
	v_add_f32_e32 v5, 0x32c2b494, v5
	v_mul_f32_e64 v7, |v1|, s0
	v_fma_f32 v6, v3, v5, -v6
	v_rndne_f32_e32 v9, v7
	v_add_f32_e32 v6, 0x345c003f, v6
	v_sub_f32_e32 v11, v7, v9
	v_fma_f32 v7, |v1|, s0, -v7
	s_mov_b32 s0, 0x32a5705f
	v_fma_f32 v5, v3, v6, -v5
	v_fma_f32 v7, |v1|, s0, v7
	v_add_f32_e32 v5, 0x3642095e, v5
	v_add_f32_e32 v7, v11, v7
	v_fma_f32 v6, v3, v5, -v6
	v_exp_f32_e32 v7, v7
	v_cvt_i32_f32_e32 v9, v9
	v_add_f32_e32 v6, 0x38907d1c, v6
	v_fma_f32 v5, v3, v6, -v5
	v_add_f32_e32 v5, 0x3b5ccc65, v5
	s_mov_b32 s0, 0xc2ce8ed0
	v_fma_f32 v3, v3, v5, -v6
	v_ldexp_f32 v5, v7, v9
	v_cmp_nlt_f32_e64 vcc, |v1|, s0
	s_mov_b32 s0, 0x42b17218
	v_cndmask_b32_e32 v5, 0, v5, vcc
	v_mov_b32_e32 v7, 0x7f800000
	v_cmp_ngt_f32_e64 vcc, |v1|, s0
	s_mov_b32 s0, 0xf800000
	s_mov_b32 s1, 0x4f800000
	v_cndmask_b32_e32 v5, v7, v5, vcc
	v_mul_f32_e64 v7, |v1|, s1
	v_cmp_lt_f32_e64 vcc, |v1|, s0
	v_cndmask_b32_e64 v1, |v1|, v7, vcc
	v_sqrt_f32_e32 v7, v1
	v_add_f32_e32 v3, 0x3f4df315, v3
	v_sub_f32_e32 v3, v3, v6
	v_mul_f32_e32 v3, 0.5, v3
	v_mul_f32_e32 v3, v5, v3
	v_add_u32_e32 v5, -1, v7
	v_fma_f32 v6, -v5, v7, v1
	v_cmp_ge_f32_e64 s[0:1], 0, v6
	v_add_u32_e32 v6, 1, v7
	v_cndmask_b32_e64 v5, v7, v5, s[0:1]
	v_fma_f32 v7, -v6, v7, v1
	v_cmp_lt_f32_e64 s[0:1], 0, v7
	v_cndmask_b32_e64 v5, v5, v6, s[0:1]
	v_mul_f32_e32 v6, 0x37800000, v5
	v_cndmask_b32_e32 v5, v5, v6, vcc
	v_mov_b32_e32 v6, 0x260
	v_cmp_class_f32_e32 vcc, v1, v6
	v_cndmask_b32_e32 v1, v5, v1, vcc
	v_div_scale_f32 v5, s[0:1], v1, v1, v3
	v_rcp_f32_e32 v6, v5
	v_fma_f32 v7, -v5, v6, 1.0
	v_fmac_f32_e32 v6, v7, v6
	v_div_scale_f32 v7, vcc, v3, v1, v3
	v_mul_f32_e32 v9, v7, v6
	v_fma_f32 v11, -v5, v9, v7
	v_fmac_f32_e32 v9, v11, v6
	v_fma_f32 v5, -v5, v9, v7
	v_div_fmas_f32 v5, v5, v6, v9
	v_div_fixup_f32 v6, v5, v1, v3
.LBB17_1572:
	s_or_b64 exec, exec, s[2:3]
	v_mul_lo_u32 v3, s12, v8
	v_ashrrev_i32_e32 v1, 31, v3
	v_mov_b32_e32 v5, s9
	v_add_co_u32_e32 v8, vcc, s8, v3
	v_addc_co_u32_e32 v9, vcc, v5, v1, vcc
	v_mov_b32_e32 v1, 11
	v_cmp_lt_i16_sdwa s[0:1], v10, v1 src0_sel:BYTE_0 src1_sel:DWORD
	s_and_b64 vcc, exec, s[0:1]
	s_cbranch_vccnz .LBB17_1625
; %bb.1573:
	v_mov_b32_e32 v1, 25
	v_cmp_gt_i16_sdwa s[0:1], v10, v1 src0_sel:BYTE_0 src1_sel:DWORD
	s_mov_b64 s[16:17], -1
	s_mov_b64 s[2:3], 0
	s_and_b64 vcc, exec, s[0:1]
	s_mov_b64 s[10:11], 0
	s_mov_b64 s[0:1], 0
	s_cbranch_vccz .LBB17_1657
; %bb.1574:
	v_mov_b32_e32 v1, 28
	v_cmp_gt_i16_sdwa s[0:1], v10, v1 src0_sel:BYTE_0 src1_sel:DWORD
	s_and_b64 vcc, exec, s[0:1]
	s_cbranch_vccz .LBB17_1626
; %bb.1575:
	v_mov_b32_e32 v1, 43
	v_cmp_gt_i16_sdwa s[0:1], v10, v1 src0_sel:BYTE_0 src1_sel:DWORD
	s_and_b64 vcc, exec, s[0:1]
	s_cbranch_vccz .LBB17_1627
; %bb.1576:
	v_mov_b32_e32 v1, 45
	v_cmp_gt_i16_sdwa s[0:1], v10, v1 src0_sel:BYTE_0 src1_sel:DWORD
	s_and_b64 vcc, exec, s[0:1]
	s_cbranch_vccz .LBB17_1629
; %bb.1577:
	v_mov_b32_e32 v1, 46
	v_cmp_eq_u16_sdwa s[10:11], v10, v1 src0_sel:BYTE_0 src1_sel:DWORD
	s_mov_b64 s[0:1], -1
	s_mov_b64 s[16:17], 0
	s_and_b64 vcc, exec, s[10:11]
	s_mov_b64 s[10:11], 0
	s_cbranch_vccz .LBB17_1630
; %bb.1578:
	v_bfe_u32 v1, v0, 16, 1
	s_movk_i32 s0, 0x7fff
	v_add3_u32 v1, v0, v1, s0
	v_lshrrev_b32_e32 v1, 16, v1
	v_mov_b32_e32 v5, 0x7fc0
	v_cmp_o_f32_e32 vcc, v0, v0
	v_cndmask_b32_e32 v1, v5, v1, vcc
	global_store_dword v[8:9], v1, off
	s_mov_b64 s[0:1], 0
	s_mov_b64 s[10:11], -1
	s_branch .LBB17_1630
.LBB17_1579:
	s_mov_b64 s[0:1], 0
                                        ; implicit-def: $vgpr2
                                        ; implicit-def: $vgpr0_vgpr1
                                        ; implicit-def: $vgpr6
.LBB17_1580:
	s_mov_b64 s[2:3], 0
.LBB17_1581:
	s_andn2_b64 s[6:7], s[6:7], exec
	s_and_b64 s[8:9], s[14:15], exec
	s_and_b64 s[0:1], s[0:1], exec
	;; [unrolled: 1-line block ×3, first 2 shown]
	s_or_b64 s[6:7], s[6:7], s[8:9]
.LBB17_1582:
	s_or_b64 exec, exec, s[4:5]
	s_and_saveexec_b64 s[4:5], s[6:7]
	s_cbranch_execz .LBB17_1585
; %bb.1583:
	; divergent unreachable
	s_or_b64 exec, exec, s[4:5]
	s_and_saveexec_b64 s[4:5], s[2:3]
	s_xor_b64 s[2:3], exec, s[4:5]
	s_cbranch_execnz .LBB17_1586
.LBB17_1584:
	s_or_b64 exec, exec, s[2:3]
	s_and_saveexec_b64 s[2:3], s[0:1]
	s_cbranch_execnz .LBB17_1587
	s_branch .LBB17_1624
.LBB17_1585:
	s_or_b64 exec, exec, s[4:5]
	s_and_saveexec_b64 s[4:5], s[2:3]
	s_xor_b64 s[2:3], exec, s[4:5]
	s_cbranch_execz .LBB17_1584
.LBB17_1586:
	v_cmp_neq_f32_e32 vcc, 0, v6
	s_waitcnt vmcnt(0)
	v_cndmask_b32_e64 v3, 0, 1, vcc
	global_store_byte v[0:1], v3, off
	s_or_b64 exec, exec, s[2:3]
	s_and_saveexec_b64 s[2:3], s[0:1]
	s_cbranch_execz .LBB17_1624
.LBB17_1587:
	s_waitcnt vmcnt(0)
	v_cmp_gt_i16_e32 vcc, 5, v2
	s_mov_b64 s[0:1], -1
	s_cbranch_vccnz .LBB17_1608
; %bb.1588:
	v_cmp_gt_i16_e32 vcc, 8, v2
	s_cbranch_vccnz .LBB17_1598
; %bb.1589:
	v_cmp_gt_i16_e32 vcc, 9, v2
	s_cbranch_vccnz .LBB17_1595
; %bb.1590:
	v_cmp_lt_i16_e32 vcc, 9, v2
	s_cbranch_vccz .LBB17_1592
; %bb.1591:
	v_mov_b32_e32 v10, 0
	v_cvt_f64_f32_e32 v[8:9], v6
	v_mov_b32_e32 v11, v10
	global_store_dwordx4 v[0:1], v[8:11], off
	s_mov_b64 s[0:1], 0
.LBB17_1592:
	s_andn2_b64 vcc, exec, s[0:1]
	s_cbranch_vccnz .LBB17_1594
; %bb.1593:
	v_mov_b32_e32 v7, 0
	global_store_dwordx2 v[0:1], v[6:7], off
.LBB17_1594:
	s_mov_b64 s[0:1], 0
.LBB17_1595:
	s_andn2_b64 vcc, exec, s[0:1]
	s_cbranch_vccnz .LBB17_1597
; %bb.1596:
	v_cvt_f16_f32_e32 v3, v6
	global_store_dword v[0:1], v3, off
.LBB17_1597:
	s_mov_b64 s[0:1], 0
.LBB17_1598:
	s_andn2_b64 vcc, exec, s[0:1]
	s_cbranch_vccnz .LBB17_1607
; %bb.1599:
	v_cmp_gt_i16_e32 vcc, 6, v2
	s_mov_b64 s[0:1], -1
	s_cbranch_vccnz .LBB17_1605
; %bb.1600:
	v_cmp_lt_i16_e32 vcc, 6, v2
	s_cbranch_vccz .LBB17_1602
; %bb.1601:
	v_cvt_f64_f32_e32 v[4:5], v6
	global_store_dwordx2 v[0:1], v[4:5], off
	s_mov_b64 s[0:1], 0
.LBB17_1602:
	s_andn2_b64 vcc, exec, s[0:1]
	s_cbranch_vccnz .LBB17_1604
; %bb.1603:
	global_store_dword v[0:1], v6, off
.LBB17_1604:
	s_mov_b64 s[0:1], 0
.LBB17_1605:
	s_andn2_b64 vcc, exec, s[0:1]
	s_cbranch_vccnz .LBB17_1607
; %bb.1606:
	v_cvt_f16_f32_e32 v3, v6
	global_store_short v[0:1], v3, off
.LBB17_1607:
	s_mov_b64 s[0:1], 0
.LBB17_1608:
	s_andn2_b64 vcc, exec, s[0:1]
	s_cbranch_vccnz .LBB17_1624
; %bb.1609:
	v_cmp_gt_i16_e32 vcc, 2, v2
	s_mov_b64 s[0:1], -1
	s_cbranch_vccnz .LBB17_1619
; %bb.1610:
	v_cmp_gt_i16_e32 vcc, 3, v2
	s_cbranch_vccnz .LBB17_1616
; %bb.1611:
	v_cmp_lt_i16_e32 vcc, 3, v2
	s_cbranch_vccz .LBB17_1613
; %bb.1612:
	v_trunc_f32_e32 v3, v6
	s_mov_b32 s0, 0x2f800000
	v_mul_f32_e64 v4, |v3|, s0
	v_floor_f32_e32 v4, v4
	s_mov_b32 s0, 0xcf800000
	v_cvt_u32_f32_e32 v5, v4
	v_fma_f32 v4, v4, s0, |v3|
	v_cvt_u32_f32_e32 v4, v4
	v_ashrrev_i32_e32 v3, 31, v3
	v_xor_b32_e32 v5, v5, v3
	s_mov_b64 s[0:1], 0
	v_xor_b32_e32 v4, v4, v3
	v_sub_co_u32_e32 v4, vcc, v4, v3
	v_subb_co_u32_e32 v5, vcc, v5, v3, vcc
	global_store_dwordx2 v[0:1], v[4:5], off
.LBB17_1613:
	s_andn2_b64 vcc, exec, s[0:1]
	s_cbranch_vccnz .LBB17_1615
; %bb.1614:
	v_cvt_i32_f32_e32 v3, v6
	global_store_dword v[0:1], v3, off
.LBB17_1615:
	s_mov_b64 s[0:1], 0
.LBB17_1616:
	s_andn2_b64 vcc, exec, s[0:1]
	s_cbranch_vccnz .LBB17_1618
; %bb.1617:
	v_cvt_i32_f32_e32 v3, v6
	global_store_short v[0:1], v3, off
.LBB17_1618:
	s_mov_b64 s[0:1], 0
.LBB17_1619:
	s_andn2_b64 vcc, exec, s[0:1]
	s_cbranch_vccnz .LBB17_1624
; %bb.1620:
	v_cmp_lt_i16_e32 vcc, 0, v2
	s_mov_b64 s[0:1], -1
	s_cbranch_vccz .LBB17_1622
; %bb.1621:
	v_cvt_i32_f32_e32 v2, v6
	s_mov_b64 s[0:1], 0
	global_store_byte v[0:1], v2, off
.LBB17_1622:
	s_andn2_b64 vcc, exec, s[0:1]
	s_cbranch_vccnz .LBB17_1624
; %bb.1623:
	v_trunc_f32_e32 v2, v6
	s_mov_b32 s0, 0x2f800000
	v_mul_f32_e64 v3, |v2|, s0
	v_floor_f32_e32 v3, v3
	s_mov_b32 s0, 0xcf800000
	v_fma_f32 v3, v3, s0, |v2|
	v_cvt_u32_f32_e32 v3, v3
	v_ashrrev_i32_e32 v2, 31, v2
	v_xor_b32_e32 v3, v3, v2
	v_sub_u32_e32 v2, v3, v2
	global_store_byte v[0:1], v2, off
	s_endpgm
.LBB17_1624:
	s_endpgm
.LBB17_1625:
	s_mov_b64 s[0:1], -1
	s_mov_b64 s[10:11], 0
	s_branch .LBB17_1701
.LBB17_1626:
	s_mov_b64 s[0:1], 0
	s_branch .LBB17_1640
.LBB17_1627:
	s_mov_b64 s[0:1], 0
	s_branch .LBB17_1636
.LBB17_1628:
	s_trap 2
	s_or_b64 s[14:15], s[14:15], exec
                                        ; implicit-def: $vgpr1
	s_cbranch_execz .LBB17_1516
	s_branch .LBB17_1517
.LBB17_1629:
	s_mov_b64 s[0:1], 0
.LBB17_1630:
	s_and_b64 vcc, exec, s[16:17]
	s_cbranch_vccz .LBB17_1635
; %bb.1631:
	v_mov_b32_e32 v1, 44
	v_cmp_eq_u16_sdwa s[16:17], v10, v1 src0_sel:BYTE_0 src1_sel:DWORD
	s_mov_b64 s[0:1], -1
	s_and_b64 vcc, exec, s[16:17]
	s_cbranch_vccz .LBB17_1635
; %bb.1632:
	v_bfe_u32 v1, v0, 23, 8
	s_movk_i32 s0, 0xff
	v_cmp_ne_u32_e32 vcc, s0, v1
	v_mov_b32_e32 v5, 0xff
	s_and_saveexec_b64 s[10:11], vcc
; %bb.1633:
	s_mov_b32 s0, 0x3fffff
	v_and_b32_e32 v7, 0x400000, v0
	v_and_or_b32 v1, v0, s0, v1
	v_cmp_ne_u32_e32 vcc, 0, v7
	v_cmp_ne_u32_e64 s[0:1], 0, v1
	s_and_b64 s[0:1], vcc, s[0:1]
	v_lshrrev_b32_e32 v5, 23, v0
	v_cndmask_b32_e64 v1, 0, 1, s[0:1]
	v_add_u32_e32 v5, v5, v1
; %bb.1634:
	s_or_b64 exec, exec, s[10:11]
	s_mov_b64 s[0:1], 0
	s_mov_b64 s[10:11], -1
	global_store_byte v[8:9], v5, off
.LBB17_1635:
	s_mov_b64 s[16:17], 0
.LBB17_1636:
	s_and_b64 vcc, exec, s[16:17]
	s_cbranch_vccz .LBB17_1639
; %bb.1637:
	v_mov_b32_e32 v1, 29
	v_cmp_eq_u16_sdwa s[16:17], v10, v1 src0_sel:BYTE_0 src1_sel:DWORD
	s_mov_b64 s[0:1], -1
	s_and_b64 vcc, exec, s[16:17]
	s_cbranch_vccz .LBB17_1639
; %bb.1638:
	v_trunc_f32_e32 v1, v0
	v_mul_f32_e32 v5, 0x2f800000, v1
	v_floor_f32_e32 v5, v5
	v_fmac_f32_e32 v1, 0xcf800000, v5
	v_cvt_u32_f32_e32 v13, v5
	v_cvt_u32_f32_e32 v12, v1
	s_mov_b64 s[0:1], 0
	s_mov_b64 s[10:11], -1
	s_mov_b64 s[16:17], 0
	global_store_dwordx2 v[8:9], v[12:13], off
	s_branch .LBB17_1640
.LBB17_1639:
	s_mov_b64 s[16:17], 0
.LBB17_1640:
	s_and_b64 vcc, exec, s[16:17]
	s_cbranch_vccz .LBB17_1656
; %bb.1641:
	v_mov_b32_e32 v1, 27
	v_cmp_lt_i16_sdwa s[16:17], v10, v1 src0_sel:BYTE_0 src1_sel:DWORD
	s_mov_b64 s[10:11], -1
	s_and_b64 vcc, exec, s[16:17]
	s_cbranch_vccnz .LBB17_1647
; %bb.1642:
	v_cmp_gt_i16_sdwa s[16:17], v10, v1 src0_sel:BYTE_0 src1_sel:DWORD
	v_cvt_u32_f32_e32 v1, v0
	s_and_b64 vcc, exec, s[16:17]
	s_cbranch_vccz .LBB17_1644
; %bb.1643:
	s_mov_b64 s[10:11], 0
	global_store_dword v[8:9], v1, off
.LBB17_1644:
	s_andn2_b64 vcc, exec, s[10:11]
	s_cbranch_vccnz .LBB17_1646
; %bb.1645:
	global_store_short v[8:9], v1, off
.LBB17_1646:
	s_mov_b64 s[10:11], 0
.LBB17_1647:
	s_andn2_b64 vcc, exec, s[10:11]
	s_cbranch_vccnz .LBB17_1655
; %bb.1648:
	v_and_b32_e32 v1, 0x7fffffff, v0
	s_mov_b32 s10, 0x43800000
	v_cmp_gt_u32_e32 vcc, s10, v1
	v_mov_b32_e32 v5, 0x80
	s_and_saveexec_b64 s[10:11], vcc
	s_cbranch_execz .LBB17_1654
; %bb.1649:
	s_mov_b32 s13, 0x3bffffff
	v_cmp_lt_u32_e32 vcc, s13, v1
	s_mov_b64 s[16:17], 0
                                        ; implicit-def: $vgpr1
	s_and_saveexec_b64 s[18:19], vcc
	s_xor_b64 s[18:19], exec, s[18:19]
	s_cbranch_execz .LBB17_1750
; %bb.1650:
	v_bfe_u32 v1, v0, 20, 1
	s_mov_b32 s13, 0x487ffff
	v_add3_u32 v1, v0, v1, s13
	s_mov_b64 s[16:17], exec
	v_lshrrev_b32_e32 v1, 20, v1
	s_or_saveexec_b64 s[18:19], s[18:19]
                                        ; implicit-def: $sgpr13
	s_xor_b64 exec, exec, s[18:19]
	s_cbranch_execnz .LBB17_1751
.LBB17_1651:
	s_or_b64 exec, exec, s[18:19]
	v_mov_b32_e32 v5, s13
	s_and_saveexec_b64 s[18:19], s[16:17]
.LBB17_1652:
	v_lshrrev_b32_e32 v5, 24, v0
	s_movk_i32 s13, 0x80
	v_and_or_b32 v5, v5, s13, v1
.LBB17_1653:
	s_or_b64 exec, exec, s[18:19]
.LBB17_1654:
	s_or_b64 exec, exec, s[10:11]
	global_store_byte v[8:9], v5, off
.LBB17_1655:
	s_mov_b64 s[10:11], -1
.LBB17_1656:
	s_mov_b64 s[16:17], 0
.LBB17_1657:
	s_and_b64 vcc, exec, s[16:17]
	s_cbranch_vccz .LBB17_1697
; %bb.1658:
	v_mov_b32_e32 v1, 22
	v_cmp_gt_i16_sdwa s[16:17], v10, v1 src0_sel:BYTE_0 src1_sel:DWORD
	s_mov_b64 s[2:3], -1
	s_and_b64 vcc, exec, s[16:17]
	s_cbranch_vccz .LBB17_1690
; %bb.1659:
	v_mov_b32_e32 v1, 24
	v_cmp_lt_i16_sdwa s[10:11], v10, v1 src0_sel:BYTE_0 src1_sel:DWORD
	s_and_b64 vcc, exec, s[10:11]
	s_cbranch_vccnz .LBB17_1679
; %bb.1660:
	v_cmp_gt_i16_sdwa s[10:11], v10, v1 src0_sel:BYTE_0 src1_sel:DWORD
	s_and_b64 vcc, exec, s[10:11]
	s_cbranch_vccz .LBB17_1668
; %bb.1661:
	v_and_b32_e32 v1, 0x7fffffff, v0
	s_mov_b32 s2, 0x47800000
	v_cmp_gt_u32_e32 vcc, s2, v1
	v_mov_b32_e32 v5, 0x80
	s_and_saveexec_b64 s[2:3], vcc
	s_cbranch_execz .LBB17_1667
; %bb.1662:
	s_mov_b32 s10, 0x37ffffff
	v_cmp_lt_u32_e32 vcc, s10, v1
	s_mov_b64 s[10:11], 0
                                        ; implicit-def: $vgpr1
	s_and_saveexec_b64 s[16:17], vcc
	s_xor_b64 s[16:17], exec, s[16:17]
	s_cbranch_execz .LBB17_1754
; %bb.1663:
	v_bfe_u32 v1, v0, 21, 1
	s_mov_b32 s13, 0x88fffff
	v_add3_u32 v1, v0, v1, s13
	s_mov_b64 s[10:11], exec
	v_lshrrev_b32_e32 v1, 21, v1
	s_or_saveexec_b64 s[16:17], s[16:17]
                                        ; implicit-def: $sgpr13
	s_xor_b64 exec, exec, s[16:17]
	s_cbranch_execnz .LBB17_1755
.LBB17_1664:
	s_or_b64 exec, exec, s[16:17]
	v_mov_b32_e32 v5, s13
	s_and_saveexec_b64 s[16:17], s[10:11]
.LBB17_1665:
	v_lshrrev_b32_e32 v5, 24, v0
	s_movk_i32 s10, 0x80
	v_and_or_b32 v5, v5, s10, v1
.LBB17_1666:
	s_or_b64 exec, exec, s[16:17]
.LBB17_1667:
	s_or_b64 exec, exec, s[2:3]
	s_mov_b64 s[2:3], 0
	global_store_byte v[8:9], v5, off
.LBB17_1668:
	s_and_b64 vcc, exec, s[2:3]
	s_cbranch_vccz .LBB17_1678
; %bb.1669:
	v_and_b32_e32 v5, 0x7fffffff, v0
	s_mov_b32 s2, 0x43f00000
	v_cmp_gt_u32_e32 vcc, s2, v5
                                        ; implicit-def: $vgpr1
	s_and_saveexec_b64 s[2:3], vcc
	s_xor_b64 s[2:3], exec, s[2:3]
	s_cbranch_execz .LBB17_1675
; %bb.1670:
	s_mov_b32 s10, 0x3c7fffff
	v_cmp_lt_u32_e32 vcc, s10, v5
                                        ; implicit-def: $vgpr1
	s_and_saveexec_b64 s[10:11], vcc
	s_xor_b64 s[10:11], exec, s[10:11]
; %bb.1671:
	v_bfe_u32 v1, v0, 20, 1
	s_mov_b32 s13, 0x407ffff
	v_add3_u32 v1, v0, v1, s13
	v_lshrrev_b32_e32 v5, 20, v1
	v_and_b32_e32 v1, 0xff00000, v1
	s_mov_b32 s13, 0x7f00000
	v_mov_b32_e32 v7, 0x7e
	v_cmp_ne_u32_e32 vcc, s13, v1
	v_cndmask_b32_e32 v1, v7, v5, vcc
; %bb.1672:
	s_andn2_saveexec_b64 s[10:11], s[10:11]
; %bb.1673:
	s_mov_b32 s13, 0x46800000
	v_add_f32_e64 v1, |v0|, s13
; %bb.1674:
	s_or_b64 exec, exec, s[10:11]
                                        ; implicit-def: $vgpr5
.LBB17_1675:
	s_andn2_saveexec_b64 s[2:3], s[2:3]
; %bb.1676:
	s_mov_b32 s10, 0x7f800000
	v_mov_b32_e32 v1, 0x7e
	v_mov_b32_e32 v7, 0x7f
	v_cmp_lt_u32_e32 vcc, s10, v5
	v_cndmask_b32_e32 v1, v1, v7, vcc
; %bb.1677:
	s_or_b64 exec, exec, s[2:3]
	v_lshrrev_b32_e32 v5, 24, v0
	s_movk_i32 s2, 0x80
	v_and_or_b32 v1, v5, s2, v1
	global_store_byte v[8:9], v1, off
.LBB17_1678:
	s_mov_b64 s[2:3], 0
.LBB17_1679:
	s_andn2_b64 vcc, exec, s[2:3]
	s_cbranch_vccnz .LBB17_1689
; %bb.1680:
	v_and_b32_e32 v5, 0x7fffffff, v0
	s_mov_b32 s2, 0x47800000
	v_cmp_gt_u32_e32 vcc, s2, v5
                                        ; implicit-def: $vgpr1
	s_and_saveexec_b64 s[2:3], vcc
	s_xor_b64 s[2:3], exec, s[2:3]
	s_cbranch_execz .LBB17_1686
; %bb.1681:
	s_mov_b32 s10, 0x387fffff
	v_cmp_lt_u32_e32 vcc, s10, v5
                                        ; implicit-def: $vgpr1
	s_and_saveexec_b64 s[10:11], vcc
	s_xor_b64 s[10:11], exec, s[10:11]
; %bb.1682:
	v_bfe_u32 v1, v0, 21, 1
	s_mov_b32 s13, 0x80fffff
	v_add3_u32 v1, v0, v1, s13
	v_lshrrev_b32_e32 v1, 21, v1
; %bb.1683:
	s_andn2_saveexec_b64 s[10:11], s[10:11]
; %bb.1684:
	s_mov_b32 s13, 0x43000000
	v_add_f32_e64 v1, |v0|, s13
; %bb.1685:
	s_or_b64 exec, exec, s[10:11]
                                        ; implicit-def: $vgpr5
.LBB17_1686:
	s_andn2_saveexec_b64 s[2:3], s[2:3]
; %bb.1687:
	s_mov_b32 s10, 0x7f800000
	v_mov_b32_e32 v1, 0x7c
	v_mov_b32_e32 v7, 0x7f
	v_cmp_lt_u32_e32 vcc, s10, v5
	v_cndmask_b32_e32 v1, v1, v7, vcc
; %bb.1688:
	s_or_b64 exec, exec, s[2:3]
	v_lshrrev_b32_e32 v5, 24, v0
	s_movk_i32 s2, 0x80
	v_and_or_b32 v1, v5, s2, v1
	global_store_byte v[8:9], v1, off
.LBB17_1689:
	s_mov_b64 s[2:3], 0
	s_mov_b64 s[10:11], -1
.LBB17_1690:
	s_andn2_b64 vcc, exec, s[2:3]
	s_mov_b64 s[2:3], 0
	s_cbranch_vccnz .LBB17_1697
; %bb.1691:
	v_mov_b32_e32 v1, 14
	v_cmp_gt_i16_sdwa s[2:3], v10, v1 src0_sel:BYTE_0 src1_sel:DWORD
	s_mov_b64 s[16:17], -1
	s_and_b64 vcc, exec, s[2:3]
	s_cbranch_vccz .LBB17_1695
; %bb.1692:
	v_mov_b32_e32 v1, 15
	v_cmp_eq_u16_sdwa s[2:3], v10, v1 src0_sel:BYTE_0 src1_sel:DWORD
	s_mov_b64 s[0:1], -1
	s_and_b64 vcc, exec, s[2:3]
	s_cbranch_vccz .LBB17_1694
; %bb.1693:
	v_bfe_u32 v1, v0, 16, 1
	s_movk_i32 s0, 0x7fff
	v_add3_u32 v1, v0, v1, s0
	v_lshrrev_b32_e32 v1, 16, v1
	v_mov_b32_e32 v5, 0x7fc0
	v_cmp_o_f32_e32 vcc, v0, v0
	v_cndmask_b32_e32 v1, v5, v1, vcc
	global_store_short v[8:9], v1, off
	s_mov_b64 s[0:1], 0
	s_mov_b64 s[10:11], -1
.LBB17_1694:
	s_mov_b64 s[16:17], 0
.LBB17_1695:
	s_mov_b64 s[2:3], 0
	s_and_b64 vcc, exec, s[16:17]
	s_cbranch_vccz .LBB17_1697
; %bb.1696:
	v_mov_b32_e32 v1, 11
	v_cmp_ne_u16_sdwa s[0:1], v10, v1 src0_sel:BYTE_0 src1_sel:DWORD
	s_mov_b64 s[2:3], -1
.LBB17_1697:
	s_and_b64 vcc, exec, s[0:1]
	s_cbranch_vccnz .LBB17_1753
; %bb.1698:
	s_andn2_b64 vcc, exec, s[2:3]
	s_cbranch_vccnz .LBB17_1700
.LBB17_1699:
	v_cmp_neq_f32_e32 vcc, 0, v0
	v_cndmask_b32_e64 v1, 0, 1, vcc
	s_mov_b64 s[10:11], -1
	global_store_byte v[8:9], v1, off
.LBB17_1700:
	s_mov_b64 s[0:1], 0
.LBB17_1701:
	s_and_b64 vcc, exec, s[0:1]
	s_cbranch_vccz .LBB17_1740
; %bb.1702:
	v_mov_b32_e32 v1, 5
	v_cmp_lt_i16_sdwa s[2:3], v10, v1 src0_sel:BYTE_0 src1_sel:DWORD
	s_mov_b64 s[0:1], -1
	s_and_b64 vcc, exec, s[2:3]
	s_cbranch_vccnz .LBB17_1723
; %bb.1703:
	v_mov_b32_e32 v1, 8
	v_cmp_lt_i16_sdwa s[2:3], v10, v1 src0_sel:BYTE_0 src1_sel:DWORD
	s_and_b64 vcc, exec, s[2:3]
	s_cbranch_vccnz .LBB17_1713
; %bb.1704:
	v_mov_b32_e32 v1, 9
	v_cmp_lt_i16_sdwa s[2:3], v10, v1 src0_sel:BYTE_0 src1_sel:DWORD
	s_and_b64 vcc, exec, s[2:3]
	s_cbranch_vccnz .LBB17_1710
; %bb.1705:
	v_cmp_gt_i16_sdwa s[2:3], v10, v1 src0_sel:BYTE_0 src1_sel:DWORD
	s_and_b64 vcc, exec, s[2:3]
	s_cbranch_vccz .LBB17_1707
; %bb.1706:
	v_mov_b32_e32 v14, 0
	v_cvt_f64_f32_e32 v[12:13], v0
	v_mov_b32_e32 v15, v14
	global_store_dwordx4 v[8:9], v[12:15], off
	s_mov_b64 s[0:1], 0
.LBB17_1707:
	s_andn2_b64 vcc, exec, s[0:1]
	s_cbranch_vccnz .LBB17_1709
; %bb.1708:
	v_mov_b32_e32 v1, 0
	global_store_dwordx2 v[8:9], v[0:1], off
.LBB17_1709:
	s_mov_b64 s[0:1], 0
.LBB17_1710:
	s_andn2_b64 vcc, exec, s[0:1]
	s_cbranch_vccnz .LBB17_1712
; %bb.1711:
	v_cvt_f16_f32_e32 v1, v0
	global_store_dword v[8:9], v1, off
.LBB17_1712:
	s_mov_b64 s[0:1], 0
.LBB17_1713:
	s_andn2_b64 vcc, exec, s[0:1]
	s_cbranch_vccnz .LBB17_1722
; %bb.1714:
	v_mov_b32_e32 v1, 6
	v_cmp_lt_i16_sdwa s[2:3], v10, v1 src0_sel:BYTE_0 src1_sel:DWORD
	s_mov_b64 s[0:1], -1
	s_and_b64 vcc, exec, s[2:3]
	s_cbranch_vccnz .LBB17_1720
; %bb.1715:
	v_cmp_gt_i16_sdwa s[2:3], v10, v1 src0_sel:BYTE_0 src1_sel:DWORD
	s_and_b64 vcc, exec, s[2:3]
	s_cbranch_vccz .LBB17_1717
; %bb.1716:
	v_cvt_f64_f32_e32 v[12:13], v0
	global_store_dwordx2 v[8:9], v[12:13], off
	s_mov_b64 s[0:1], 0
.LBB17_1717:
	s_andn2_b64 vcc, exec, s[0:1]
	s_cbranch_vccnz .LBB17_1719
; %bb.1718:
	global_store_dword v[8:9], v0, off
.LBB17_1719:
	s_mov_b64 s[0:1], 0
.LBB17_1720:
	s_andn2_b64 vcc, exec, s[0:1]
	s_cbranch_vccnz .LBB17_1722
; %bb.1721:
	v_cvt_f16_f32_e32 v1, v0
	global_store_short v[8:9], v1, off
.LBB17_1722:
	s_mov_b64 s[0:1], 0
.LBB17_1723:
	s_andn2_b64 vcc, exec, s[0:1]
	s_cbranch_vccnz .LBB17_1739
; %bb.1724:
	v_mov_b32_e32 v1, 2
	v_cmp_lt_i16_sdwa s[2:3], v10, v1 src0_sel:BYTE_0 src1_sel:DWORD
	s_mov_b64 s[0:1], -1
	s_and_b64 vcc, exec, s[2:3]
	s_cbranch_vccnz .LBB17_1734
; %bb.1725:
	v_mov_b32_e32 v1, 3
	v_cmp_lt_i16_sdwa s[2:3], v10, v1 src0_sel:BYTE_0 src1_sel:DWORD
	s_and_b64 vcc, exec, s[2:3]
	s_cbranch_vccnz .LBB17_1731
; %bb.1726:
	v_cmp_gt_i16_sdwa s[2:3], v10, v1 src0_sel:BYTE_0 src1_sel:DWORD
	s_and_b64 vcc, exec, s[2:3]
	s_cbranch_vccz .LBB17_1728
; %bb.1727:
	v_trunc_f32_e32 v1, v0
	s_mov_b32 s0, 0x2f800000
	v_mul_f32_e64 v5, |v1|, s0
	v_floor_f32_e32 v5, v5
	s_mov_b32 s0, 0xcf800000
	v_cvt_u32_f32_e32 v7, v5
	v_fma_f32 v5, v5, s0, |v1|
	v_cvt_u32_f32_e32 v5, v5
	v_ashrrev_i32_e32 v1, 31, v1
	v_xor_b32_e32 v7, v7, v1
	s_mov_b64 s[0:1], 0
	v_xor_b32_e32 v5, v5, v1
	v_sub_co_u32_e32 v12, vcc, v5, v1
	v_subb_co_u32_e32 v13, vcc, v7, v1, vcc
	global_store_dwordx2 v[8:9], v[12:13], off
.LBB17_1728:
	s_andn2_b64 vcc, exec, s[0:1]
	s_cbranch_vccnz .LBB17_1730
; %bb.1729:
	v_cvt_i32_f32_e32 v1, v0
	global_store_dword v[8:9], v1, off
.LBB17_1730:
	s_mov_b64 s[0:1], 0
.LBB17_1731:
	s_andn2_b64 vcc, exec, s[0:1]
	s_cbranch_vccnz .LBB17_1733
; %bb.1732:
	v_cvt_i32_f32_e32 v1, v0
	global_store_short v[8:9], v1, off
.LBB17_1733:
	s_mov_b64 s[0:1], 0
.LBB17_1734:
	s_andn2_b64 vcc, exec, s[0:1]
	s_cbranch_vccnz .LBB17_1739
; %bb.1735:
	v_mov_b32_e32 v1, 0
	v_cmp_gt_i16_sdwa s[2:3], v10, v1 src0_sel:BYTE_0 src1_sel:DWORD
	s_mov_b64 s[0:1], -1
	s_and_b64 vcc, exec, s[2:3]
	s_cbranch_vccz .LBB17_1737
; %bb.1736:
	v_cvt_i32_f32_e32 v1, v0
	s_mov_b64 s[0:1], 0
	global_store_byte v[8:9], v1, off
.LBB17_1737:
	s_andn2_b64 vcc, exec, s[0:1]
	s_cbranch_vccnz .LBB17_1739
; %bb.1738:
	v_trunc_f32_e32 v0, v0
	s_mov_b32 s0, 0x2f800000
	v_mul_f32_e64 v1, |v0|, s0
	v_floor_f32_e32 v1, v1
	s_mov_b32 s0, 0xcf800000
	v_fma_f32 v1, v1, s0, |v0|
	v_cvt_u32_f32_e32 v1, v1
	v_ashrrev_i32_e32 v0, 31, v0
	v_xor_b32_e32 v1, v1, v0
	v_sub_u32_e32 v0, v1, v0
	global_store_byte v[8:9], v0, off
.LBB17_1739:
	s_mov_b64 s[10:11], -1
.LBB17_1740:
	s_andn2_b64 vcc, exec, s[10:11]
	s_cbranch_vccnz .LBB17_2071
; %bb.1741:
	s_lshl_b32 s18, s12, 7
	v_add_u32_e32 v5, s18, v3
	v_ashrrev_i32_e32 v1, 31, v5
	v_mov_b32_e32 v3, s9
	v_add_co_u32_e32 v0, vcc, s8, v5
	v_addc_co_u32_e32 v1, vcc, v3, v1, vcc
	v_mov_b32_e32 v3, 11
	v_cmp_lt_i16_sdwa s[0:1], v10, v3 src0_sel:BYTE_0 src1_sel:DWORD
	s_and_b64 vcc, exec, s[0:1]
	s_cbranch_vccnz .LBB17_1748
; %bb.1742:
	v_mov_b32_e32 v3, 25
	v_cmp_gt_i16_sdwa s[0:1], v10, v3 src0_sel:BYTE_0 src1_sel:DWORD
	s_mov_b64 s[12:13], -1
	s_mov_b64 s[2:3], 0
	s_and_b64 vcc, exec, s[0:1]
	s_mov_b64 s[10:11], 0
	s_mov_b64 s[0:1], 0
	s_cbranch_vccz .LBB17_1784
; %bb.1743:
	v_mov_b32_e32 v3, 28
	v_cmp_gt_i16_sdwa s[0:1], v10, v3 src0_sel:BYTE_0 src1_sel:DWORD
	s_and_b64 vcc, exec, s[0:1]
	s_cbranch_vccz .LBB17_1749
; %bb.1744:
	v_mov_b32_e32 v3, 43
	v_cmp_gt_i16_sdwa s[0:1], v10, v3 src0_sel:BYTE_0 src1_sel:DWORD
	s_and_b64 vcc, exec, s[0:1]
	;; [unrolled: 5-line block ×3, first 2 shown]
	s_cbranch_vccz .LBB17_1756
; %bb.1746:
	v_mov_b32_e32 v3, 46
	v_cmp_eq_u16_sdwa s[10:11], v10, v3 src0_sel:BYTE_0 src1_sel:DWORD
	s_mov_b64 s[0:1], -1
	s_mov_b64 s[12:13], 0
	s_and_b64 vcc, exec, s[10:11]
	s_mov_b64 s[10:11], 0
	s_cbranch_vccz .LBB17_1757
; %bb.1747:
	v_bfe_u32 v3, v2, 16, 1
	s_movk_i32 s0, 0x7fff
	v_add3_u32 v3, v2, v3, s0
	v_lshrrev_b32_e32 v3, 16, v3
	v_mov_b32_e32 v7, 0x7fc0
	v_cmp_o_f32_e32 vcc, v2, v2
	v_cndmask_b32_e32 v3, v7, v3, vcc
	global_store_dword v[0:1], v3, off
	s_mov_b64 s[0:1], 0
	s_mov_b64 s[10:11], -1
	s_branch .LBB17_1757
.LBB17_1748:
	s_mov_b64 s[0:1], -1
	s_mov_b64 s[10:11], 0
	s_branch .LBB17_1828
.LBB17_1749:
	s_mov_b64 s[0:1], 0
	s_branch .LBB17_1767
.LBB17_1750:
	s_or_saveexec_b64 s[18:19], s[18:19]
                                        ; implicit-def: $sgpr13
	s_xor_b64 exec, exec, s[18:19]
	s_cbranch_execz .LBB17_1651
.LBB17_1751:
	s_mov_b32 s13, 0x46000000
	v_add_f32_e64 v1, |v0|, s13
	v_and_b32_e32 v1, 0xff, v1
	v_cmp_ne_u32_e32 vcc, 0, v1
	s_andn2_b64 s[16:17], s[16:17], exec
	s_and_b64 s[20:21], vcc, exec
	s_mov_b32 s13, 0
	s_or_b64 s[16:17], s[16:17], s[20:21]
	s_or_b64 exec, exec, s[18:19]
	v_mov_b32_e32 v5, s13
	s_and_saveexec_b64 s[18:19], s[16:17]
	s_cbranch_execnz .LBB17_1652
	s_branch .LBB17_1653
.LBB17_1752:
	s_mov_b64 s[0:1], 0
	s_branch .LBB17_1763
.LBB17_1753:
	s_trap 2
	s_or_b64 s[14:15], s[14:15], exec
	s_cbranch_execz .LBB17_1699
	s_branch .LBB17_1700
.LBB17_1754:
	s_or_saveexec_b64 s[16:17], s[16:17]
                                        ; implicit-def: $sgpr13
	s_xor_b64 exec, exec, s[16:17]
	s_cbranch_execz .LBB17_1664
.LBB17_1755:
	s_mov_b32 s13, 0x42800000
	v_add_f32_e64 v1, |v0|, s13
	v_and_b32_e32 v1, 0xff, v1
	v_cmp_ne_u32_e32 vcc, 0, v1
	s_andn2_b64 s[10:11], s[10:11], exec
	s_and_b64 s[18:19], vcc, exec
	s_mov_b32 s13, 0
	s_or_b64 s[10:11], s[10:11], s[18:19]
	s_or_b64 exec, exec, s[16:17]
	v_mov_b32_e32 v5, s13
	s_and_saveexec_b64 s[16:17], s[10:11]
	s_cbranch_execnz .LBB17_1665
	s_branch .LBB17_1666
.LBB17_1756:
	s_mov_b64 s[0:1], 0
.LBB17_1757:
	s_and_b64 vcc, exec, s[12:13]
	s_cbranch_vccz .LBB17_1762
; %bb.1758:
	v_mov_b32_e32 v3, 44
	v_cmp_eq_u16_sdwa s[12:13], v10, v3 src0_sel:BYTE_0 src1_sel:DWORD
	s_mov_b64 s[0:1], -1
	s_and_b64 vcc, exec, s[12:13]
	s_cbranch_vccz .LBB17_1762
; %bb.1759:
	v_bfe_u32 v3, v2, 23, 8
	s_movk_i32 s0, 0xff
	v_cmp_ne_u32_e32 vcc, s0, v3
	v_mov_b32_e32 v7, 0xff
	s_and_saveexec_b64 s[10:11], vcc
; %bb.1760:
	s_mov_b32 s0, 0x3fffff
	v_and_b32_e32 v8, 0x400000, v2
	v_and_or_b32 v3, v2, s0, v3
	v_cmp_ne_u32_e32 vcc, 0, v8
	v_cmp_ne_u32_e64 s[0:1], 0, v3
	s_and_b64 s[0:1], vcc, s[0:1]
	v_lshrrev_b32_e32 v7, 23, v2
	v_cndmask_b32_e64 v3, 0, 1, s[0:1]
	v_add_u32_e32 v7, v7, v3
; %bb.1761:
	s_or_b64 exec, exec, s[10:11]
	s_mov_b64 s[0:1], 0
	s_mov_b64 s[10:11], -1
	global_store_byte v[0:1], v7, off
.LBB17_1762:
	s_mov_b64 s[12:13], 0
.LBB17_1763:
	s_and_b64 vcc, exec, s[12:13]
	s_cbranch_vccz .LBB17_1766
; %bb.1764:
	v_mov_b32_e32 v3, 29
	v_cmp_eq_u16_sdwa s[12:13], v10, v3 src0_sel:BYTE_0 src1_sel:DWORD
	s_mov_b64 s[0:1], -1
	s_and_b64 vcc, exec, s[12:13]
	s_cbranch_vccz .LBB17_1766
; %bb.1765:
	v_trunc_f32_e32 v3, v2
	v_mul_f32_e32 v7, 0x2f800000, v3
	v_floor_f32_e32 v7, v7
	v_fmac_f32_e32 v3, 0xcf800000, v7
	v_cvt_u32_f32_e32 v9, v7
	v_cvt_u32_f32_e32 v8, v3
	s_mov_b64 s[0:1], 0
	s_mov_b64 s[10:11], -1
	s_mov_b64 s[12:13], 0
	global_store_dwordx2 v[0:1], v[8:9], off
	s_branch .LBB17_1767
.LBB17_1766:
	s_mov_b64 s[12:13], 0
.LBB17_1767:
	s_and_b64 vcc, exec, s[12:13]
	s_cbranch_vccz .LBB17_1783
; %bb.1768:
	v_mov_b32_e32 v3, 27
	v_cmp_lt_i16_sdwa s[12:13], v10, v3 src0_sel:BYTE_0 src1_sel:DWORD
	s_mov_b64 s[10:11], -1
	s_and_b64 vcc, exec, s[12:13]
	s_cbranch_vccnz .LBB17_1774
; %bb.1769:
	v_cmp_gt_i16_sdwa s[12:13], v10, v3 src0_sel:BYTE_0 src1_sel:DWORD
	v_cvt_u32_f32_e32 v3, v2
	s_and_b64 vcc, exec, s[12:13]
	s_cbranch_vccz .LBB17_1771
; %bb.1770:
	s_mov_b64 s[10:11], 0
	global_store_dword v[0:1], v3, off
.LBB17_1771:
	s_andn2_b64 vcc, exec, s[10:11]
	s_cbranch_vccnz .LBB17_1773
; %bb.1772:
	global_store_short v[0:1], v3, off
.LBB17_1773:
	s_mov_b64 s[10:11], 0
.LBB17_1774:
	s_andn2_b64 vcc, exec, s[10:11]
	s_cbranch_vccnz .LBB17_1782
; %bb.1775:
	v_and_b32_e32 v3, 0x7fffffff, v2
	s_mov_b32 s10, 0x43800000
	v_cmp_gt_u32_e32 vcc, s10, v3
	v_mov_b32_e32 v7, 0x80
	s_and_saveexec_b64 s[10:11], vcc
	s_cbranch_execz .LBB17_1781
; %bb.1776:
	s_mov_b32 s12, 0x3bffffff
	v_cmp_lt_u32_e32 vcc, s12, v3
	s_mov_b64 s[12:13], 0
                                        ; implicit-def: $vgpr3
	s_and_saveexec_b64 s[16:17], vcc
	s_xor_b64 s[16:17], exec, s[16:17]
	s_cbranch_execz .LBB17_1877
; %bb.1777:
	v_bfe_u32 v3, v2, 20, 1
	s_mov_b32 s19, 0x487ffff
	v_add3_u32 v3, v2, v3, s19
	s_mov_b64 s[12:13], exec
	v_lshrrev_b32_e32 v3, 20, v3
	s_or_saveexec_b64 s[16:17], s[16:17]
                                        ; implicit-def: $sgpr19
	s_xor_b64 exec, exec, s[16:17]
	s_cbranch_execnz .LBB17_1878
.LBB17_1778:
	s_or_b64 exec, exec, s[16:17]
	v_mov_b32_e32 v7, s19
	s_and_saveexec_b64 s[16:17], s[12:13]
.LBB17_1779:
	v_lshrrev_b32_e32 v7, 24, v2
	s_movk_i32 s12, 0x80
	v_and_or_b32 v7, v7, s12, v3
.LBB17_1780:
	s_or_b64 exec, exec, s[16:17]
.LBB17_1781:
	s_or_b64 exec, exec, s[10:11]
	global_store_byte v[0:1], v7, off
.LBB17_1782:
	s_mov_b64 s[10:11], -1
.LBB17_1783:
	s_mov_b64 s[12:13], 0
.LBB17_1784:
	s_and_b64 vcc, exec, s[12:13]
	s_cbranch_vccz .LBB17_1824
; %bb.1785:
	v_mov_b32_e32 v3, 22
	v_cmp_gt_i16_sdwa s[12:13], v10, v3 src0_sel:BYTE_0 src1_sel:DWORD
	s_mov_b64 s[2:3], -1
	s_and_b64 vcc, exec, s[12:13]
	s_cbranch_vccz .LBB17_1817
; %bb.1786:
	v_mov_b32_e32 v3, 24
	v_cmp_lt_i16_sdwa s[10:11], v10, v3 src0_sel:BYTE_0 src1_sel:DWORD
	s_and_b64 vcc, exec, s[10:11]
	s_cbranch_vccnz .LBB17_1806
; %bb.1787:
	v_cmp_gt_i16_sdwa s[10:11], v10, v3 src0_sel:BYTE_0 src1_sel:DWORD
	s_and_b64 vcc, exec, s[10:11]
	s_cbranch_vccz .LBB17_1795
; %bb.1788:
	v_and_b32_e32 v3, 0x7fffffff, v2
	s_mov_b32 s2, 0x47800000
	v_cmp_gt_u32_e32 vcc, s2, v3
	v_mov_b32_e32 v7, 0x80
	s_and_saveexec_b64 s[2:3], vcc
	s_cbranch_execz .LBB17_1794
; %bb.1789:
	s_mov_b32 s10, 0x37ffffff
	v_cmp_lt_u32_e32 vcc, s10, v3
	s_mov_b64 s[10:11], 0
                                        ; implicit-def: $vgpr3
	s_and_saveexec_b64 s[12:13], vcc
	s_xor_b64 s[12:13], exec, s[12:13]
	s_cbranch_execz .LBB17_1881
; %bb.1790:
	v_bfe_u32 v3, v2, 21, 1
	s_mov_b32 s16, 0x88fffff
	v_add3_u32 v3, v2, v3, s16
	s_mov_b64 s[10:11], exec
	v_lshrrev_b32_e32 v3, 21, v3
	s_or_saveexec_b64 s[12:13], s[12:13]
                                        ; implicit-def: $sgpr16
	s_xor_b64 exec, exec, s[12:13]
	s_cbranch_execnz .LBB17_1882
.LBB17_1791:
	s_or_b64 exec, exec, s[12:13]
	v_mov_b32_e32 v7, s16
	s_and_saveexec_b64 s[12:13], s[10:11]
.LBB17_1792:
	v_lshrrev_b32_e32 v7, 24, v2
	s_movk_i32 s10, 0x80
	v_and_or_b32 v7, v7, s10, v3
.LBB17_1793:
	s_or_b64 exec, exec, s[12:13]
.LBB17_1794:
	s_or_b64 exec, exec, s[2:3]
	s_mov_b64 s[2:3], 0
	global_store_byte v[0:1], v7, off
.LBB17_1795:
	s_and_b64 vcc, exec, s[2:3]
	s_cbranch_vccz .LBB17_1805
; %bb.1796:
	v_and_b32_e32 v7, 0x7fffffff, v2
	s_mov_b32 s2, 0x43f00000
	v_cmp_gt_u32_e32 vcc, s2, v7
                                        ; implicit-def: $vgpr3
	s_and_saveexec_b64 s[2:3], vcc
	s_xor_b64 s[2:3], exec, s[2:3]
	s_cbranch_execz .LBB17_1802
; %bb.1797:
	s_mov_b32 s10, 0x3c7fffff
	v_cmp_lt_u32_e32 vcc, s10, v7
                                        ; implicit-def: $vgpr3
	s_and_saveexec_b64 s[10:11], vcc
	s_xor_b64 s[10:11], exec, s[10:11]
; %bb.1798:
	v_bfe_u32 v3, v2, 20, 1
	s_mov_b32 s12, 0x407ffff
	v_add3_u32 v3, v2, v3, s12
	v_lshrrev_b32_e32 v7, 20, v3
	v_and_b32_e32 v3, 0xff00000, v3
	s_mov_b32 s12, 0x7f00000
	v_mov_b32_e32 v8, 0x7e
	v_cmp_ne_u32_e32 vcc, s12, v3
	v_cndmask_b32_e32 v3, v8, v7, vcc
; %bb.1799:
	s_andn2_saveexec_b64 s[10:11], s[10:11]
; %bb.1800:
	s_mov_b32 s12, 0x46800000
	v_add_f32_e64 v3, |v2|, s12
; %bb.1801:
	s_or_b64 exec, exec, s[10:11]
                                        ; implicit-def: $vgpr7
.LBB17_1802:
	s_andn2_saveexec_b64 s[2:3], s[2:3]
; %bb.1803:
	s_mov_b32 s10, 0x7f800000
	v_mov_b32_e32 v3, 0x7e
	v_mov_b32_e32 v8, 0x7f
	v_cmp_lt_u32_e32 vcc, s10, v7
	v_cndmask_b32_e32 v3, v3, v8, vcc
; %bb.1804:
	s_or_b64 exec, exec, s[2:3]
	v_lshrrev_b32_e32 v7, 24, v2
	s_movk_i32 s2, 0x80
	v_and_or_b32 v3, v7, s2, v3
	global_store_byte v[0:1], v3, off
.LBB17_1805:
	s_mov_b64 s[2:3], 0
.LBB17_1806:
	s_andn2_b64 vcc, exec, s[2:3]
	s_cbranch_vccnz .LBB17_1816
; %bb.1807:
	v_and_b32_e32 v7, 0x7fffffff, v2
	s_mov_b32 s2, 0x47800000
	v_cmp_gt_u32_e32 vcc, s2, v7
                                        ; implicit-def: $vgpr3
	s_and_saveexec_b64 s[2:3], vcc
	s_xor_b64 s[2:3], exec, s[2:3]
	s_cbranch_execz .LBB17_1813
; %bb.1808:
	s_mov_b32 s10, 0x387fffff
	v_cmp_lt_u32_e32 vcc, s10, v7
                                        ; implicit-def: $vgpr3
	s_and_saveexec_b64 s[10:11], vcc
	s_xor_b64 s[10:11], exec, s[10:11]
; %bb.1809:
	v_bfe_u32 v3, v2, 21, 1
	s_mov_b32 s12, 0x80fffff
	v_add3_u32 v3, v2, v3, s12
	v_lshrrev_b32_e32 v3, 21, v3
; %bb.1810:
	s_andn2_saveexec_b64 s[10:11], s[10:11]
; %bb.1811:
	s_mov_b32 s12, 0x43000000
	v_add_f32_e64 v3, |v2|, s12
; %bb.1812:
	s_or_b64 exec, exec, s[10:11]
                                        ; implicit-def: $vgpr7
.LBB17_1813:
	s_andn2_saveexec_b64 s[2:3], s[2:3]
; %bb.1814:
	s_mov_b32 s10, 0x7f800000
	v_mov_b32_e32 v3, 0x7c
	v_mov_b32_e32 v8, 0x7f
	v_cmp_lt_u32_e32 vcc, s10, v7
	v_cndmask_b32_e32 v3, v3, v8, vcc
; %bb.1815:
	s_or_b64 exec, exec, s[2:3]
	v_lshrrev_b32_e32 v7, 24, v2
	s_movk_i32 s2, 0x80
	v_and_or_b32 v3, v7, s2, v3
	global_store_byte v[0:1], v3, off
.LBB17_1816:
	s_mov_b64 s[2:3], 0
	s_mov_b64 s[10:11], -1
.LBB17_1817:
	s_andn2_b64 vcc, exec, s[2:3]
	s_mov_b64 s[2:3], 0
	s_cbranch_vccnz .LBB17_1824
; %bb.1818:
	v_mov_b32_e32 v3, 14
	v_cmp_gt_i16_sdwa s[2:3], v10, v3 src0_sel:BYTE_0 src1_sel:DWORD
	s_mov_b64 s[12:13], -1
	s_and_b64 vcc, exec, s[2:3]
	s_cbranch_vccz .LBB17_1822
; %bb.1819:
	v_mov_b32_e32 v3, 15
	v_cmp_eq_u16_sdwa s[2:3], v10, v3 src0_sel:BYTE_0 src1_sel:DWORD
	s_mov_b64 s[0:1], -1
	s_and_b64 vcc, exec, s[2:3]
	s_cbranch_vccz .LBB17_1821
; %bb.1820:
	v_bfe_u32 v3, v2, 16, 1
	s_movk_i32 s0, 0x7fff
	v_add3_u32 v3, v2, v3, s0
	v_lshrrev_b32_e32 v3, 16, v3
	v_mov_b32_e32 v7, 0x7fc0
	v_cmp_o_f32_e32 vcc, v2, v2
	v_cndmask_b32_e32 v3, v7, v3, vcc
	global_store_short v[0:1], v3, off
	s_mov_b64 s[0:1], 0
	s_mov_b64 s[10:11], -1
.LBB17_1821:
	s_mov_b64 s[12:13], 0
.LBB17_1822:
	s_mov_b64 s[2:3], 0
	s_and_b64 vcc, exec, s[12:13]
	s_cbranch_vccz .LBB17_1824
; %bb.1823:
	v_mov_b32_e32 v3, 11
	v_cmp_ne_u16_sdwa s[0:1], v10, v3 src0_sel:BYTE_0 src1_sel:DWORD
	s_mov_b64 s[2:3], -1
.LBB17_1824:
	s_and_b64 vcc, exec, s[0:1]
	s_cbranch_vccnz .LBB17_1880
; %bb.1825:
	s_andn2_b64 vcc, exec, s[2:3]
	s_cbranch_vccnz .LBB17_1827
.LBB17_1826:
	v_cmp_neq_f32_e32 vcc, 0, v2
	v_cndmask_b32_e64 v3, 0, 1, vcc
	s_mov_b64 s[10:11], -1
	global_store_byte v[0:1], v3, off
.LBB17_1827:
	s_mov_b64 s[0:1], 0
.LBB17_1828:
	s_and_b64 vcc, exec, s[0:1]
	s_cbranch_vccz .LBB17_1867
; %bb.1829:
	v_mov_b32_e32 v3, 5
	v_cmp_lt_i16_sdwa s[2:3], v10, v3 src0_sel:BYTE_0 src1_sel:DWORD
	s_mov_b64 s[0:1], -1
	s_and_b64 vcc, exec, s[2:3]
	s_cbranch_vccnz .LBB17_1850
; %bb.1830:
	v_mov_b32_e32 v3, 8
	v_cmp_lt_i16_sdwa s[2:3], v10, v3 src0_sel:BYTE_0 src1_sel:DWORD
	s_and_b64 vcc, exec, s[2:3]
	s_cbranch_vccnz .LBB17_1840
; %bb.1831:
	v_mov_b32_e32 v3, 9
	v_cmp_lt_i16_sdwa s[2:3], v10, v3 src0_sel:BYTE_0 src1_sel:DWORD
	s_and_b64 vcc, exec, s[2:3]
	s_cbranch_vccnz .LBB17_1837
; %bb.1832:
	v_cmp_gt_i16_sdwa s[2:3], v10, v3 src0_sel:BYTE_0 src1_sel:DWORD
	s_and_b64 vcc, exec, s[2:3]
	s_cbranch_vccz .LBB17_1834
; %bb.1833:
	v_mov_b32_e32 v14, 0
	v_cvt_f64_f32_e32 v[12:13], v2
	v_mov_b32_e32 v15, v14
	global_store_dwordx4 v[0:1], v[12:15], off
	s_mov_b64 s[0:1], 0
.LBB17_1834:
	s_andn2_b64 vcc, exec, s[0:1]
	s_cbranch_vccnz .LBB17_1836
; %bb.1835:
	v_mov_b32_e32 v3, 0
	global_store_dwordx2 v[0:1], v[2:3], off
.LBB17_1836:
	s_mov_b64 s[0:1], 0
.LBB17_1837:
	s_andn2_b64 vcc, exec, s[0:1]
	s_cbranch_vccnz .LBB17_1839
; %bb.1838:
	v_cvt_f16_f32_e32 v3, v2
	global_store_dword v[0:1], v3, off
.LBB17_1839:
	s_mov_b64 s[0:1], 0
.LBB17_1840:
	s_andn2_b64 vcc, exec, s[0:1]
	s_cbranch_vccnz .LBB17_1849
; %bb.1841:
	v_mov_b32_e32 v3, 6
	v_cmp_lt_i16_sdwa s[2:3], v10, v3 src0_sel:BYTE_0 src1_sel:DWORD
	s_mov_b64 s[0:1], -1
	s_and_b64 vcc, exec, s[2:3]
	s_cbranch_vccnz .LBB17_1847
; %bb.1842:
	v_cmp_gt_i16_sdwa s[2:3], v10, v3 src0_sel:BYTE_0 src1_sel:DWORD
	s_and_b64 vcc, exec, s[2:3]
	s_cbranch_vccz .LBB17_1844
; %bb.1843:
	v_cvt_f64_f32_e32 v[8:9], v2
	global_store_dwordx2 v[0:1], v[8:9], off
	s_mov_b64 s[0:1], 0
.LBB17_1844:
	s_andn2_b64 vcc, exec, s[0:1]
	s_cbranch_vccnz .LBB17_1846
; %bb.1845:
	global_store_dword v[0:1], v2, off
.LBB17_1846:
	s_mov_b64 s[0:1], 0
.LBB17_1847:
	s_andn2_b64 vcc, exec, s[0:1]
	s_cbranch_vccnz .LBB17_1849
; %bb.1848:
	v_cvt_f16_f32_e32 v3, v2
	global_store_short v[0:1], v3, off
.LBB17_1849:
	s_mov_b64 s[0:1], 0
.LBB17_1850:
	s_andn2_b64 vcc, exec, s[0:1]
	s_cbranch_vccnz .LBB17_1866
; %bb.1851:
	v_mov_b32_e32 v3, 2
	v_cmp_lt_i16_sdwa s[2:3], v10, v3 src0_sel:BYTE_0 src1_sel:DWORD
	s_mov_b64 s[0:1], -1
	s_and_b64 vcc, exec, s[2:3]
	s_cbranch_vccnz .LBB17_1861
; %bb.1852:
	v_mov_b32_e32 v3, 3
	v_cmp_lt_i16_sdwa s[2:3], v10, v3 src0_sel:BYTE_0 src1_sel:DWORD
	s_and_b64 vcc, exec, s[2:3]
	s_cbranch_vccnz .LBB17_1858
; %bb.1853:
	v_cmp_gt_i16_sdwa s[2:3], v10, v3 src0_sel:BYTE_0 src1_sel:DWORD
	s_and_b64 vcc, exec, s[2:3]
	s_cbranch_vccz .LBB17_1855
; %bb.1854:
	v_trunc_f32_e32 v3, v2
	s_mov_b32 s0, 0x2f800000
	v_mul_f32_e64 v7, |v3|, s0
	v_floor_f32_e32 v7, v7
	s_mov_b32 s0, 0xcf800000
	v_cvt_u32_f32_e32 v8, v7
	v_fma_f32 v7, v7, s0, |v3|
	v_cvt_u32_f32_e32 v7, v7
	v_ashrrev_i32_e32 v3, 31, v3
	v_xor_b32_e32 v9, v8, v3
	s_mov_b64 s[0:1], 0
	v_xor_b32_e32 v7, v7, v3
	v_sub_co_u32_e32 v8, vcc, v7, v3
	v_subb_co_u32_e32 v9, vcc, v9, v3, vcc
	global_store_dwordx2 v[0:1], v[8:9], off
.LBB17_1855:
	s_andn2_b64 vcc, exec, s[0:1]
	s_cbranch_vccnz .LBB17_1857
; %bb.1856:
	v_cvt_i32_f32_e32 v3, v2
	global_store_dword v[0:1], v3, off
.LBB17_1857:
	s_mov_b64 s[0:1], 0
.LBB17_1858:
	s_andn2_b64 vcc, exec, s[0:1]
	s_cbranch_vccnz .LBB17_1860
; %bb.1859:
	v_cvt_i32_f32_e32 v3, v2
	global_store_short v[0:1], v3, off
.LBB17_1860:
	s_mov_b64 s[0:1], 0
.LBB17_1861:
	s_andn2_b64 vcc, exec, s[0:1]
	s_cbranch_vccnz .LBB17_1866
; %bb.1862:
	v_mov_b32_e32 v3, 0
	v_cmp_gt_i16_sdwa s[2:3], v10, v3 src0_sel:BYTE_0 src1_sel:DWORD
	s_mov_b64 s[0:1], -1
	s_and_b64 vcc, exec, s[2:3]
	s_cbranch_vccz .LBB17_1864
; %bb.1863:
	v_cvt_i32_f32_e32 v3, v2
	s_mov_b64 s[0:1], 0
	global_store_byte v[0:1], v3, off
.LBB17_1864:
	s_andn2_b64 vcc, exec, s[0:1]
	s_cbranch_vccnz .LBB17_1866
; %bb.1865:
	v_trunc_f32_e32 v2, v2
	s_mov_b32 s0, 0x2f800000
	v_mul_f32_e64 v3, |v2|, s0
	v_floor_f32_e32 v3, v3
	s_mov_b32 s0, 0xcf800000
	v_fma_f32 v3, v3, s0, |v2|
	v_cvt_u32_f32_e32 v3, v3
	v_ashrrev_i32_e32 v2, 31, v2
	v_xor_b32_e32 v3, v3, v2
	v_sub_u32_e32 v2, v3, v2
	global_store_byte v[0:1], v2, off
.LBB17_1866:
	s_mov_b64 s[10:11], -1
.LBB17_1867:
	s_andn2_b64 vcc, exec, s[10:11]
	s_cbranch_vccnz .LBB17_2071
; %bb.1868:
	v_add_u32_e32 v2, s18, v5
	v_ashrrev_i32_e32 v1, 31, v2
	v_mov_b32_e32 v3, s9
	v_add_co_u32_e32 v0, vcc, s8, v2
	v_addc_co_u32_e32 v1, vcc, v3, v1, vcc
	v_mov_b32_e32 v3, 11
	v_cmp_lt_i16_sdwa s[0:1], v10, v3 src0_sel:BYTE_0 src1_sel:DWORD
	s_and_b64 vcc, exec, s[0:1]
	s_cbranch_vccnz .LBB17_1875
; %bb.1869:
	v_mov_b32_e32 v3, 25
	v_cmp_gt_i16_sdwa s[0:1], v10, v3 src0_sel:BYTE_0 src1_sel:DWORD
	s_mov_b64 s[12:13], -1
	s_mov_b64 s[2:3], 0
	s_and_b64 vcc, exec, s[0:1]
	s_mov_b64 s[10:11], 0
	s_mov_b64 s[0:1], 0
	s_cbranch_vccz .LBB17_1911
; %bb.1870:
	v_mov_b32_e32 v3, 28
	v_cmp_gt_i16_sdwa s[0:1], v10, v3 src0_sel:BYTE_0 src1_sel:DWORD
	s_and_b64 vcc, exec, s[0:1]
	s_cbranch_vccz .LBB17_1876
; %bb.1871:
	v_mov_b32_e32 v3, 43
	v_cmp_gt_i16_sdwa s[0:1], v10, v3 src0_sel:BYTE_0 src1_sel:DWORD
	s_and_b64 vcc, exec, s[0:1]
	;; [unrolled: 5-line block ×3, first 2 shown]
	s_cbranch_vccz .LBB17_1883
; %bb.1873:
	v_mov_b32_e32 v3, 46
	v_cmp_eq_u16_sdwa s[10:11], v10, v3 src0_sel:BYTE_0 src1_sel:DWORD
	s_mov_b64 s[0:1], -1
	s_mov_b64 s[12:13], 0
	s_and_b64 vcc, exec, s[10:11]
	s_mov_b64 s[10:11], 0
	s_cbranch_vccz .LBB17_1884
; %bb.1874:
	v_bfe_u32 v3, v4, 16, 1
	s_movk_i32 s0, 0x7fff
	v_add3_u32 v3, v4, v3, s0
	v_lshrrev_b32_e32 v3, 16, v3
	v_mov_b32_e32 v5, 0x7fc0
	v_cmp_o_f32_e32 vcc, v4, v4
	v_cndmask_b32_e32 v3, v5, v3, vcc
	global_store_dword v[0:1], v3, off
	s_mov_b64 s[0:1], 0
	s_mov_b64 s[10:11], -1
	s_branch .LBB17_1884
.LBB17_1875:
	s_mov_b64 s[0:1], -1
	s_mov_b64 s[10:11], 0
	s_branch .LBB17_1955
.LBB17_1876:
	s_mov_b64 s[0:1], 0
	s_branch .LBB17_1894
.LBB17_1877:
	s_or_saveexec_b64 s[16:17], s[16:17]
                                        ; implicit-def: $sgpr19
	s_xor_b64 exec, exec, s[16:17]
	s_cbranch_execz .LBB17_1778
.LBB17_1878:
	s_mov_b32 s19, 0x46000000
	v_add_f32_e64 v3, |v2|, s19
	v_and_b32_e32 v3, 0xff, v3
	v_cmp_ne_u32_e32 vcc, 0, v3
	s_andn2_b64 s[12:13], s[12:13], exec
	s_and_b64 s[20:21], vcc, exec
	s_mov_b32 s19, 0
	s_or_b64 s[12:13], s[12:13], s[20:21]
	s_or_b64 exec, exec, s[16:17]
	v_mov_b32_e32 v7, s19
	s_and_saveexec_b64 s[16:17], s[12:13]
	s_cbranch_execnz .LBB17_1779
	s_branch .LBB17_1780
.LBB17_1879:
	s_mov_b64 s[0:1], 0
	s_branch .LBB17_1890
.LBB17_1880:
	s_trap 2
	s_or_b64 s[14:15], s[14:15], exec
	s_cbranch_execz .LBB17_1826
	s_branch .LBB17_1827
.LBB17_1881:
	s_or_saveexec_b64 s[12:13], s[12:13]
                                        ; implicit-def: $sgpr16
	s_xor_b64 exec, exec, s[12:13]
	s_cbranch_execz .LBB17_1791
.LBB17_1882:
	s_mov_b32 s16, 0x42800000
	v_add_f32_e64 v3, |v2|, s16
	v_and_b32_e32 v3, 0xff, v3
	v_cmp_ne_u32_e32 vcc, 0, v3
	s_andn2_b64 s[10:11], s[10:11], exec
	s_and_b64 s[20:21], vcc, exec
	s_mov_b32 s16, 0
	s_or_b64 s[10:11], s[10:11], s[20:21]
	s_or_b64 exec, exec, s[12:13]
	v_mov_b32_e32 v7, s16
	s_and_saveexec_b64 s[12:13], s[10:11]
	s_cbranch_execnz .LBB17_1792
	s_branch .LBB17_1793
.LBB17_1883:
	s_mov_b64 s[0:1], 0
.LBB17_1884:
	s_and_b64 vcc, exec, s[12:13]
	s_cbranch_vccz .LBB17_1889
; %bb.1885:
	v_mov_b32_e32 v3, 44
	v_cmp_eq_u16_sdwa s[12:13], v10, v3 src0_sel:BYTE_0 src1_sel:DWORD
	s_mov_b64 s[0:1], -1
	s_and_b64 vcc, exec, s[12:13]
	s_cbranch_vccz .LBB17_1889
; %bb.1886:
	v_bfe_u32 v3, v4, 23, 8
	s_movk_i32 s0, 0xff
	v_cmp_ne_u32_e32 vcc, s0, v3
	v_mov_b32_e32 v5, 0xff
	s_and_saveexec_b64 s[10:11], vcc
; %bb.1887:
	s_mov_b32 s0, 0x3fffff
	v_and_b32_e32 v7, 0x400000, v4
	v_and_or_b32 v3, v4, s0, v3
	v_cmp_ne_u32_e32 vcc, 0, v7
	v_cmp_ne_u32_e64 s[0:1], 0, v3
	s_and_b64 s[0:1], vcc, s[0:1]
	v_lshrrev_b32_e32 v5, 23, v4
	v_cndmask_b32_e64 v3, 0, 1, s[0:1]
	v_add_u32_e32 v5, v5, v3
; %bb.1888:
	s_or_b64 exec, exec, s[10:11]
	s_mov_b64 s[0:1], 0
	s_mov_b64 s[10:11], -1
	global_store_byte v[0:1], v5, off
.LBB17_1889:
	s_mov_b64 s[12:13], 0
.LBB17_1890:
	s_and_b64 vcc, exec, s[12:13]
	s_cbranch_vccz .LBB17_1893
; %bb.1891:
	v_mov_b32_e32 v3, 29
	v_cmp_eq_u16_sdwa s[12:13], v10, v3 src0_sel:BYTE_0 src1_sel:DWORD
	s_mov_b64 s[0:1], -1
	s_and_b64 vcc, exec, s[12:13]
	s_cbranch_vccz .LBB17_1893
; %bb.1892:
	v_trunc_f32_e32 v3, v4
	v_mul_f32_e32 v5, 0x2f800000, v3
	v_floor_f32_e32 v5, v5
	v_fmac_f32_e32 v3, 0xcf800000, v5
	v_cvt_u32_f32_e32 v9, v5
	v_cvt_u32_f32_e32 v8, v3
	s_mov_b64 s[0:1], 0
	s_mov_b64 s[10:11], -1
	s_mov_b64 s[12:13], 0
	global_store_dwordx2 v[0:1], v[8:9], off
	s_branch .LBB17_1894
.LBB17_1893:
	s_mov_b64 s[12:13], 0
.LBB17_1894:
	s_and_b64 vcc, exec, s[12:13]
	s_cbranch_vccz .LBB17_1910
; %bb.1895:
	v_mov_b32_e32 v3, 27
	v_cmp_lt_i16_sdwa s[12:13], v10, v3 src0_sel:BYTE_0 src1_sel:DWORD
	s_mov_b64 s[10:11], -1
	s_and_b64 vcc, exec, s[12:13]
	s_cbranch_vccnz .LBB17_1901
; %bb.1896:
	v_cmp_gt_i16_sdwa s[12:13], v10, v3 src0_sel:BYTE_0 src1_sel:DWORD
	v_cvt_u32_f32_e32 v3, v4
	s_and_b64 vcc, exec, s[12:13]
	s_cbranch_vccz .LBB17_1898
; %bb.1897:
	s_mov_b64 s[10:11], 0
	global_store_dword v[0:1], v3, off
.LBB17_1898:
	s_andn2_b64 vcc, exec, s[10:11]
	s_cbranch_vccnz .LBB17_1900
; %bb.1899:
	global_store_short v[0:1], v3, off
.LBB17_1900:
	s_mov_b64 s[10:11], 0
.LBB17_1901:
	s_andn2_b64 vcc, exec, s[10:11]
	s_cbranch_vccnz .LBB17_1909
; %bb.1902:
	v_and_b32_e32 v3, 0x7fffffff, v4
	s_mov_b32 s10, 0x43800000
	v_cmp_gt_u32_e32 vcc, s10, v3
	v_mov_b32_e32 v5, 0x80
	s_and_saveexec_b64 s[10:11], vcc
	s_cbranch_execz .LBB17_1908
; %bb.1903:
	s_mov_b32 s12, 0x3bffffff
	v_cmp_lt_u32_e32 vcc, s12, v3
	s_mov_b64 s[12:13], 0
                                        ; implicit-def: $vgpr3
	s_and_saveexec_b64 s[16:17], vcc
	s_xor_b64 s[16:17], exec, s[16:17]
	s_cbranch_execz .LBB17_2073
; %bb.1904:
	v_bfe_u32 v3, v4, 20, 1
	s_mov_b32 s19, 0x487ffff
	v_add3_u32 v3, v4, v3, s19
	s_mov_b64 s[12:13], exec
	v_lshrrev_b32_e32 v3, 20, v3
	s_or_saveexec_b64 s[16:17], s[16:17]
                                        ; implicit-def: $sgpr19
	s_xor_b64 exec, exec, s[16:17]
	s_cbranch_execnz .LBB17_2074
.LBB17_1905:
	s_or_b64 exec, exec, s[16:17]
	v_mov_b32_e32 v5, s19
	s_and_saveexec_b64 s[16:17], s[12:13]
.LBB17_1906:
	v_lshrrev_b32_e32 v5, 24, v4
	s_movk_i32 s12, 0x80
	v_and_or_b32 v5, v5, s12, v3
.LBB17_1907:
	s_or_b64 exec, exec, s[16:17]
.LBB17_1908:
	s_or_b64 exec, exec, s[10:11]
	global_store_byte v[0:1], v5, off
.LBB17_1909:
	s_mov_b64 s[10:11], -1
.LBB17_1910:
	s_mov_b64 s[12:13], 0
.LBB17_1911:
	s_and_b64 vcc, exec, s[12:13]
	s_cbranch_vccz .LBB17_1951
; %bb.1912:
	v_mov_b32_e32 v3, 22
	v_cmp_gt_i16_sdwa s[12:13], v10, v3 src0_sel:BYTE_0 src1_sel:DWORD
	s_mov_b64 s[2:3], -1
	s_and_b64 vcc, exec, s[12:13]
	s_cbranch_vccz .LBB17_1944
; %bb.1913:
	v_mov_b32_e32 v3, 24
	v_cmp_lt_i16_sdwa s[10:11], v10, v3 src0_sel:BYTE_0 src1_sel:DWORD
	s_and_b64 vcc, exec, s[10:11]
	s_cbranch_vccnz .LBB17_1933
; %bb.1914:
	v_cmp_gt_i16_sdwa s[10:11], v10, v3 src0_sel:BYTE_0 src1_sel:DWORD
	s_and_b64 vcc, exec, s[10:11]
	s_cbranch_vccz .LBB17_1922
; %bb.1915:
	v_and_b32_e32 v3, 0x7fffffff, v4
	s_mov_b32 s2, 0x47800000
	v_cmp_gt_u32_e32 vcc, s2, v3
	v_mov_b32_e32 v5, 0x80
	s_and_saveexec_b64 s[2:3], vcc
	s_cbranch_execz .LBB17_1921
; %bb.1916:
	s_mov_b32 s10, 0x37ffffff
	v_cmp_lt_u32_e32 vcc, s10, v3
	s_mov_b64 s[10:11], 0
                                        ; implicit-def: $vgpr3
	s_and_saveexec_b64 s[12:13], vcc
	s_xor_b64 s[12:13], exec, s[12:13]
	s_cbranch_execz .LBB17_2076
; %bb.1917:
	v_bfe_u32 v3, v4, 21, 1
	s_mov_b32 s16, 0x88fffff
	v_add3_u32 v3, v4, v3, s16
	s_mov_b64 s[10:11], exec
	v_lshrrev_b32_e32 v3, 21, v3
	s_or_saveexec_b64 s[12:13], s[12:13]
                                        ; implicit-def: $sgpr16
	s_xor_b64 exec, exec, s[12:13]
	s_cbranch_execnz .LBB17_2077
.LBB17_1918:
	s_or_b64 exec, exec, s[12:13]
	v_mov_b32_e32 v5, s16
	s_and_saveexec_b64 s[12:13], s[10:11]
.LBB17_1919:
	v_lshrrev_b32_e32 v5, 24, v4
	s_movk_i32 s10, 0x80
	v_and_or_b32 v5, v5, s10, v3
.LBB17_1920:
	s_or_b64 exec, exec, s[12:13]
.LBB17_1921:
	s_or_b64 exec, exec, s[2:3]
	s_mov_b64 s[2:3], 0
	global_store_byte v[0:1], v5, off
.LBB17_1922:
	s_and_b64 vcc, exec, s[2:3]
	s_cbranch_vccz .LBB17_1932
; %bb.1923:
	v_and_b32_e32 v5, 0x7fffffff, v4
	s_mov_b32 s2, 0x43f00000
	v_cmp_gt_u32_e32 vcc, s2, v5
                                        ; implicit-def: $vgpr3
	s_and_saveexec_b64 s[2:3], vcc
	s_xor_b64 s[2:3], exec, s[2:3]
	s_cbranch_execz .LBB17_1929
; %bb.1924:
	s_mov_b32 s10, 0x3c7fffff
	v_cmp_lt_u32_e32 vcc, s10, v5
                                        ; implicit-def: $vgpr3
	s_and_saveexec_b64 s[10:11], vcc
	s_xor_b64 s[10:11], exec, s[10:11]
; %bb.1925:
	v_bfe_u32 v3, v4, 20, 1
	s_mov_b32 s12, 0x407ffff
	v_add3_u32 v3, v4, v3, s12
	v_lshrrev_b32_e32 v5, 20, v3
	v_and_b32_e32 v3, 0xff00000, v3
	s_mov_b32 s12, 0x7f00000
	v_mov_b32_e32 v7, 0x7e
	v_cmp_ne_u32_e32 vcc, s12, v3
	v_cndmask_b32_e32 v3, v7, v5, vcc
; %bb.1926:
	s_andn2_saveexec_b64 s[10:11], s[10:11]
; %bb.1927:
	s_mov_b32 s12, 0x46800000
	v_add_f32_e64 v3, |v4|, s12
; %bb.1928:
	s_or_b64 exec, exec, s[10:11]
                                        ; implicit-def: $vgpr5
.LBB17_1929:
	s_andn2_saveexec_b64 s[2:3], s[2:3]
; %bb.1930:
	s_mov_b32 s10, 0x7f800000
	v_mov_b32_e32 v3, 0x7e
	v_mov_b32_e32 v7, 0x7f
	v_cmp_lt_u32_e32 vcc, s10, v5
	v_cndmask_b32_e32 v3, v3, v7, vcc
; %bb.1931:
	s_or_b64 exec, exec, s[2:3]
	v_lshrrev_b32_e32 v5, 24, v4
	s_movk_i32 s2, 0x80
	v_and_or_b32 v3, v5, s2, v3
	global_store_byte v[0:1], v3, off
.LBB17_1932:
	s_mov_b64 s[2:3], 0
.LBB17_1933:
	s_andn2_b64 vcc, exec, s[2:3]
	s_cbranch_vccnz .LBB17_1943
; %bb.1934:
	v_and_b32_e32 v5, 0x7fffffff, v4
	s_mov_b32 s2, 0x47800000
	v_cmp_gt_u32_e32 vcc, s2, v5
                                        ; implicit-def: $vgpr3
	s_and_saveexec_b64 s[2:3], vcc
	s_xor_b64 s[2:3], exec, s[2:3]
	s_cbranch_execz .LBB17_1940
; %bb.1935:
	s_mov_b32 s10, 0x387fffff
	v_cmp_lt_u32_e32 vcc, s10, v5
                                        ; implicit-def: $vgpr3
	s_and_saveexec_b64 s[10:11], vcc
	s_xor_b64 s[10:11], exec, s[10:11]
; %bb.1936:
	v_bfe_u32 v3, v4, 21, 1
	s_mov_b32 s12, 0x80fffff
	v_add3_u32 v3, v4, v3, s12
	v_lshrrev_b32_e32 v3, 21, v3
; %bb.1937:
	s_andn2_saveexec_b64 s[10:11], s[10:11]
; %bb.1938:
	s_mov_b32 s12, 0x43000000
	v_add_f32_e64 v3, |v4|, s12
; %bb.1939:
	s_or_b64 exec, exec, s[10:11]
                                        ; implicit-def: $vgpr5
.LBB17_1940:
	s_andn2_saveexec_b64 s[2:3], s[2:3]
; %bb.1941:
	s_mov_b32 s10, 0x7f800000
	v_mov_b32_e32 v3, 0x7c
	v_mov_b32_e32 v7, 0x7f
	v_cmp_lt_u32_e32 vcc, s10, v5
	v_cndmask_b32_e32 v3, v3, v7, vcc
; %bb.1942:
	s_or_b64 exec, exec, s[2:3]
	v_lshrrev_b32_e32 v5, 24, v4
	s_movk_i32 s2, 0x80
	v_and_or_b32 v3, v5, s2, v3
	global_store_byte v[0:1], v3, off
.LBB17_1943:
	s_mov_b64 s[2:3], 0
	s_mov_b64 s[10:11], -1
.LBB17_1944:
	s_andn2_b64 vcc, exec, s[2:3]
	s_mov_b64 s[2:3], 0
	s_cbranch_vccnz .LBB17_1951
; %bb.1945:
	v_mov_b32_e32 v3, 14
	v_cmp_gt_i16_sdwa s[2:3], v10, v3 src0_sel:BYTE_0 src1_sel:DWORD
	s_mov_b64 s[12:13], -1
	s_and_b64 vcc, exec, s[2:3]
	s_cbranch_vccz .LBB17_1949
; %bb.1946:
	v_mov_b32_e32 v3, 15
	v_cmp_eq_u16_sdwa s[2:3], v10, v3 src0_sel:BYTE_0 src1_sel:DWORD
	s_mov_b64 s[0:1], -1
	s_and_b64 vcc, exec, s[2:3]
	s_cbranch_vccz .LBB17_1948
; %bb.1947:
	v_bfe_u32 v3, v4, 16, 1
	s_movk_i32 s0, 0x7fff
	v_add3_u32 v3, v4, v3, s0
	v_lshrrev_b32_e32 v3, 16, v3
	v_mov_b32_e32 v5, 0x7fc0
	v_cmp_o_f32_e32 vcc, v4, v4
	v_cndmask_b32_e32 v3, v5, v3, vcc
	global_store_short v[0:1], v3, off
	s_mov_b64 s[0:1], 0
	s_mov_b64 s[10:11], -1
.LBB17_1948:
	s_mov_b64 s[12:13], 0
.LBB17_1949:
	s_mov_b64 s[2:3], 0
	s_and_b64 vcc, exec, s[12:13]
	s_cbranch_vccz .LBB17_1951
; %bb.1950:
	v_mov_b32_e32 v3, 11
	v_cmp_ne_u16_sdwa s[0:1], v10, v3 src0_sel:BYTE_0 src1_sel:DWORD
	s_mov_b64 s[2:3], -1
.LBB17_1951:
	s_and_b64 vcc, exec, s[0:1]
	s_cbranch_vccnz .LBB17_2075
; %bb.1952:
	s_andn2_b64 vcc, exec, s[2:3]
	s_cbranch_vccnz .LBB17_1954
.LBB17_1953:
	v_cmp_neq_f32_e32 vcc, 0, v4
	v_cndmask_b32_e64 v3, 0, 1, vcc
	s_mov_b64 s[10:11], -1
	global_store_byte v[0:1], v3, off
.LBB17_1954:
	s_mov_b64 s[0:1], 0
.LBB17_1955:
	s_and_b64 vcc, exec, s[0:1]
	s_cbranch_vccz .LBB17_1994
; %bb.1956:
	v_mov_b32_e32 v3, 5
	v_cmp_lt_i16_sdwa s[2:3], v10, v3 src0_sel:BYTE_0 src1_sel:DWORD
	s_mov_b64 s[0:1], -1
	s_and_b64 vcc, exec, s[2:3]
	s_cbranch_vccnz .LBB17_1977
; %bb.1957:
	v_mov_b32_e32 v3, 8
	v_cmp_lt_i16_sdwa s[2:3], v10, v3 src0_sel:BYTE_0 src1_sel:DWORD
	s_and_b64 vcc, exec, s[2:3]
	s_cbranch_vccnz .LBB17_1967
; %bb.1958:
	v_mov_b32_e32 v3, 9
	v_cmp_lt_i16_sdwa s[2:3], v10, v3 src0_sel:BYTE_0 src1_sel:DWORD
	s_and_b64 vcc, exec, s[2:3]
	s_cbranch_vccnz .LBB17_1964
; %bb.1959:
	v_cmp_gt_i16_sdwa s[2:3], v10, v3 src0_sel:BYTE_0 src1_sel:DWORD
	s_and_b64 vcc, exec, s[2:3]
	s_cbranch_vccz .LBB17_1961
; %bb.1960:
	v_mov_b32_e32 v14, 0
	v_cvt_f64_f32_e32 v[12:13], v4
	v_mov_b32_e32 v15, v14
	global_store_dwordx4 v[0:1], v[12:15], off
	s_mov_b64 s[0:1], 0
.LBB17_1961:
	s_andn2_b64 vcc, exec, s[0:1]
	s_cbranch_vccnz .LBB17_1963
; %bb.1962:
	v_mov_b32_e32 v5, 0
	global_store_dwordx2 v[0:1], v[4:5], off
.LBB17_1963:
	s_mov_b64 s[0:1], 0
.LBB17_1964:
	s_andn2_b64 vcc, exec, s[0:1]
	s_cbranch_vccnz .LBB17_1966
; %bb.1965:
	v_cvt_f16_f32_e32 v3, v4
	global_store_dword v[0:1], v3, off
.LBB17_1966:
	s_mov_b64 s[0:1], 0
.LBB17_1967:
	s_andn2_b64 vcc, exec, s[0:1]
	s_cbranch_vccnz .LBB17_1976
; %bb.1968:
	v_mov_b32_e32 v3, 6
	v_cmp_lt_i16_sdwa s[2:3], v10, v3 src0_sel:BYTE_0 src1_sel:DWORD
	s_mov_b64 s[0:1], -1
	s_and_b64 vcc, exec, s[2:3]
	s_cbranch_vccnz .LBB17_1974
; %bb.1969:
	v_cmp_gt_i16_sdwa s[2:3], v10, v3 src0_sel:BYTE_0 src1_sel:DWORD
	s_and_b64 vcc, exec, s[2:3]
	s_cbranch_vccz .LBB17_1971
; %bb.1970:
	v_cvt_f64_f32_e32 v[8:9], v4
	global_store_dwordx2 v[0:1], v[8:9], off
	s_mov_b64 s[0:1], 0
.LBB17_1971:
	s_andn2_b64 vcc, exec, s[0:1]
	s_cbranch_vccnz .LBB17_1973
; %bb.1972:
	global_store_dword v[0:1], v4, off
.LBB17_1973:
	s_mov_b64 s[0:1], 0
.LBB17_1974:
	s_andn2_b64 vcc, exec, s[0:1]
	s_cbranch_vccnz .LBB17_1976
; %bb.1975:
	v_cvt_f16_f32_e32 v3, v4
	global_store_short v[0:1], v3, off
.LBB17_1976:
	s_mov_b64 s[0:1], 0
.LBB17_1977:
	s_andn2_b64 vcc, exec, s[0:1]
	s_cbranch_vccnz .LBB17_1993
; %bb.1978:
	v_mov_b32_e32 v3, 2
	v_cmp_lt_i16_sdwa s[2:3], v10, v3 src0_sel:BYTE_0 src1_sel:DWORD
	s_mov_b64 s[0:1], -1
	s_and_b64 vcc, exec, s[2:3]
	s_cbranch_vccnz .LBB17_1988
; %bb.1979:
	v_mov_b32_e32 v3, 3
	v_cmp_lt_i16_sdwa s[2:3], v10, v3 src0_sel:BYTE_0 src1_sel:DWORD
	s_and_b64 vcc, exec, s[2:3]
	s_cbranch_vccnz .LBB17_1985
; %bb.1980:
	v_cmp_gt_i16_sdwa s[2:3], v10, v3 src0_sel:BYTE_0 src1_sel:DWORD
	s_and_b64 vcc, exec, s[2:3]
	s_cbranch_vccz .LBB17_1982
; %bb.1981:
	v_trunc_f32_e32 v3, v4
	s_mov_b32 s0, 0x2f800000
	v_mul_f32_e64 v5, |v3|, s0
	v_floor_f32_e32 v5, v5
	s_mov_b32 s0, 0xcf800000
	v_cvt_u32_f32_e32 v7, v5
	v_fma_f32 v5, v5, s0, |v3|
	v_cvt_u32_f32_e32 v5, v5
	v_ashrrev_i32_e32 v3, 31, v3
	v_xor_b32_e32 v7, v7, v3
	s_mov_b64 s[0:1], 0
	v_xor_b32_e32 v5, v5, v3
	v_sub_co_u32_e32 v8, vcc, v5, v3
	v_subb_co_u32_e32 v9, vcc, v7, v3, vcc
	global_store_dwordx2 v[0:1], v[8:9], off
.LBB17_1982:
	s_andn2_b64 vcc, exec, s[0:1]
	s_cbranch_vccnz .LBB17_1984
; %bb.1983:
	v_cvt_i32_f32_e32 v3, v4
	global_store_dword v[0:1], v3, off
.LBB17_1984:
	s_mov_b64 s[0:1], 0
.LBB17_1985:
	s_andn2_b64 vcc, exec, s[0:1]
	s_cbranch_vccnz .LBB17_1987
; %bb.1986:
	v_cvt_i32_f32_e32 v3, v4
	global_store_short v[0:1], v3, off
.LBB17_1987:
	s_mov_b64 s[0:1], 0
.LBB17_1988:
	s_andn2_b64 vcc, exec, s[0:1]
	s_cbranch_vccnz .LBB17_1993
; %bb.1989:
	v_mov_b32_e32 v3, 0
	v_cmp_gt_i16_sdwa s[2:3], v10, v3 src0_sel:BYTE_0 src1_sel:DWORD
	s_mov_b64 s[0:1], -1
	s_and_b64 vcc, exec, s[2:3]
	s_cbranch_vccz .LBB17_1991
; %bb.1990:
	v_cvt_i32_f32_e32 v3, v4
	s_mov_b64 s[0:1], 0
	global_store_byte v[0:1], v3, off
.LBB17_1991:
	s_andn2_b64 vcc, exec, s[0:1]
	s_cbranch_vccnz .LBB17_1993
; %bb.1992:
	v_trunc_f32_e32 v3, v4
	s_mov_b32 s0, 0x2f800000
	v_mul_f32_e64 v4, |v3|, s0
	v_floor_f32_e32 v4, v4
	s_mov_b32 s0, 0xcf800000
	v_fma_f32 v4, v4, s0, |v3|
	v_cvt_u32_f32_e32 v4, v4
	v_ashrrev_i32_e32 v3, 31, v3
	v_xor_b32_e32 v4, v4, v3
	v_sub_u32_e32 v3, v4, v3
	global_store_byte v[0:1], v3, off
.LBB17_1993:
	s_mov_b64 s[10:11], -1
.LBB17_1994:
	s_andn2_b64 vcc, exec, s[10:11]
	s_cbranch_vccnz .LBB17_2071
; %bb.1995:
	v_add_u32_e32 v0, s18, v2
	v_ashrrev_i32_e32 v1, 31, v0
	v_mov_b32_e32 v2, s9
	v_add_co_u32_e32 v0, vcc, s8, v0
	v_addc_co_u32_e32 v1, vcc, v2, v1, vcc
	v_and_b32_e32 v2, 0xff, v10
	v_cmp_gt_i16_e32 vcc, 11, v2
	s_cbranch_vccnz .LBB17_2072
; %bb.1996:
	v_cmp_lt_i16_e32 vcc, 25, v2
	s_mov_b64 s[8:9], -1
	s_mov_b64 s[2:3], 0
	s_mov_b64 s[0:1], 0
	s_cbranch_vccz .LBB17_2029
; %bb.1997:
	v_cmp_lt_i16_e32 vcc, 28, v2
	s_cbranch_vccz .LBB17_2013
; %bb.1998:
	v_cmp_lt_i16_e32 vcc, 43, v2
	;; [unrolled: 3-line block ×3, first 2 shown]
	s_cbranch_vccz .LBB17_2003
; %bb.2000:
	v_cmp_eq_u16_e32 vcc, 46, v2
	s_mov_b64 s[0:1], -1
	s_cbranch_vccz .LBB17_2002
; %bb.2001:
	v_bfe_u32 v3, v6, 16, 1
	s_movk_i32 s0, 0x7fff
	v_add3_u32 v3, v6, v3, s0
	v_lshrrev_b32_e32 v3, 16, v3
	v_mov_b32_e32 v4, 0x7fc0
	v_cmp_o_f32_e32 vcc, v6, v6
	v_cndmask_b32_e32 v3, v4, v3, vcc
	global_store_dword v[0:1], v3, off
	s_mov_b64 s[0:1], 0
.LBB17_2002:
	s_mov_b64 s[8:9], 0
.LBB17_2003:
	s_and_b64 vcc, exec, s[8:9]
	s_cbranch_vccz .LBB17_2008
; %bb.2004:
	v_cmp_eq_u16_e32 vcc, 44, v2
	s_mov_b64 s[0:1], -1
	s_cbranch_vccz .LBB17_2008
; %bb.2005:
	v_bfe_u32 v3, v6, 23, 8
	s_movk_i32 s0, 0xff
	v_cmp_ne_u32_e32 vcc, s0, v3
	v_mov_b32_e32 v4, 0xff
	s_and_saveexec_b64 s[8:9], vcc
; %bb.2006:
	s_mov_b32 s0, 0x3fffff
	v_and_b32_e32 v5, 0x400000, v6
	v_and_or_b32 v3, v6, s0, v3
	v_cmp_ne_u32_e32 vcc, 0, v5
	v_cmp_ne_u32_e64 s[0:1], 0, v3
	s_and_b64 s[0:1], vcc, s[0:1]
	v_lshrrev_b32_e32 v4, 23, v6
	v_cndmask_b32_e64 v3, 0, 1, s[0:1]
	v_add_u32_e32 v4, v4, v3
; %bb.2007:
	s_or_b64 exec, exec, s[8:9]
	s_mov_b64 s[0:1], 0
	global_store_byte v[0:1], v4, off
.LBB17_2008:
	s_mov_b64 s[8:9], 0
.LBB17_2009:
	s_and_b64 vcc, exec, s[8:9]
	s_cbranch_vccz .LBB17_2012
; %bb.2010:
	v_cmp_eq_u16_e32 vcc, 29, v2
	s_mov_b64 s[0:1], -1
	s_cbranch_vccz .LBB17_2012
; %bb.2011:
	v_trunc_f32_e32 v3, v6
	v_mul_f32_e32 v4, 0x2f800000, v3
	v_floor_f32_e32 v4, v4
	v_fmac_f32_e32 v3, 0xcf800000, v4
	v_cvt_u32_f32_e32 v5, v4
	v_cvt_u32_f32_e32 v4, v3
	s_mov_b64 s[0:1], 0
	global_store_dwordx2 v[0:1], v[4:5], off
.LBB17_2012:
	s_mov_b64 s[8:9], 0
.LBB17_2013:
	s_and_b64 vcc, exec, s[8:9]
	s_cbranch_vccz .LBB17_2028
; %bb.2014:
	v_cmp_gt_i16_e32 vcc, 27, v2
	s_mov_b64 s[8:9], -1
	s_cbranch_vccnz .LBB17_2020
; %bb.2015:
	v_cvt_u32_f32_e32 v3, v6
	v_cmp_lt_i16_e32 vcc, 27, v2
	s_cbranch_vccz .LBB17_2017
; %bb.2016:
	global_store_dword v[0:1], v3, off
	s_mov_b64 s[8:9], 0
.LBB17_2017:
	s_andn2_b64 vcc, exec, s[8:9]
	s_cbranch_vccnz .LBB17_2019
; %bb.2018:
	global_store_short v[0:1], v3, off
.LBB17_2019:
	s_mov_b64 s[8:9], 0
.LBB17_2020:
	s_andn2_b64 vcc, exec, s[8:9]
	s_cbranch_vccnz .LBB17_2028
; %bb.2021:
	v_and_b32_e32 v3, 0x7fffffff, v6
	s_mov_b32 s8, 0x43800000
	v_cmp_gt_u32_e32 vcc, s8, v3
	v_mov_b32_e32 v4, 0x80
	s_and_saveexec_b64 s[8:9], vcc
	s_cbranch_execz .LBB17_2027
; %bb.2022:
	s_mov_b32 s10, 0x3bffffff
	v_cmp_lt_u32_e32 vcc, s10, v3
	s_mov_b64 s[10:11], 0
                                        ; implicit-def: $vgpr3
	s_and_saveexec_b64 s[12:13], vcc
	s_xor_b64 s[12:13], exec, s[12:13]
	s_cbranch_execz .LBB17_2078
; %bb.2023:
	v_bfe_u32 v3, v6, 20, 1
	s_mov_b32 s16, 0x487ffff
	v_add3_u32 v3, v6, v3, s16
	s_mov_b64 s[10:11], exec
	v_lshrrev_b32_e32 v3, 20, v3
	s_or_saveexec_b64 s[12:13], s[12:13]
                                        ; implicit-def: $sgpr16
	s_xor_b64 exec, exec, s[12:13]
	s_cbranch_execnz .LBB17_2079
.LBB17_2024:
	s_or_b64 exec, exec, s[12:13]
	v_mov_b32_e32 v4, s16
	s_and_saveexec_b64 s[12:13], s[10:11]
.LBB17_2025:
	v_lshrrev_b32_e32 v4, 24, v6
	s_movk_i32 s10, 0x80
	v_and_or_b32 v4, v4, s10, v3
.LBB17_2026:
	s_or_b64 exec, exec, s[12:13]
.LBB17_2027:
	s_or_b64 exec, exec, s[8:9]
	global_store_byte v[0:1], v4, off
.LBB17_2028:
	s_mov_b64 s[8:9], 0
.LBB17_2029:
	s_and_b64 vcc, exec, s[8:9]
	s_cbranch_vccz .LBB17_2069
; %bb.2030:
	v_cmp_lt_i16_e32 vcc, 22, v2
	s_mov_b64 s[2:3], -1
	s_cbranch_vccz .LBB17_2062
; %bb.2031:
	v_cmp_gt_i16_e32 vcc, 24, v2
	s_cbranch_vccnz .LBB17_2051
; %bb.2032:
	v_cmp_lt_i16_e32 vcc, 24, v2
	s_cbranch_vccz .LBB17_2040
; %bb.2033:
	v_and_b32_e32 v3, 0x7fffffff, v6
	s_mov_b32 s2, 0x47800000
	v_cmp_gt_u32_e32 vcc, s2, v3
	v_mov_b32_e32 v4, 0x80
	s_and_saveexec_b64 s[2:3], vcc
	s_cbranch_execz .LBB17_2039
; %bb.2034:
	s_mov_b32 s8, 0x37ffffff
	v_cmp_lt_u32_e32 vcc, s8, v3
	s_mov_b64 s[8:9], 0
                                        ; implicit-def: $vgpr3
	s_and_saveexec_b64 s[10:11], vcc
	s_xor_b64 s[10:11], exec, s[10:11]
	s_cbranch_execz .LBB17_2081
; %bb.2035:
	v_bfe_u32 v3, v6, 21, 1
	s_mov_b32 s12, 0x88fffff
	v_add3_u32 v3, v6, v3, s12
	s_mov_b64 s[8:9], exec
	v_lshrrev_b32_e32 v3, 21, v3
	s_or_saveexec_b64 s[10:11], s[10:11]
                                        ; implicit-def: $sgpr12
	s_xor_b64 exec, exec, s[10:11]
	s_cbranch_execnz .LBB17_2082
.LBB17_2036:
	s_or_b64 exec, exec, s[10:11]
	v_mov_b32_e32 v4, s12
	s_and_saveexec_b64 s[10:11], s[8:9]
.LBB17_2037:
	v_lshrrev_b32_e32 v4, 24, v6
	s_movk_i32 s8, 0x80
	v_and_or_b32 v4, v4, s8, v3
.LBB17_2038:
	s_or_b64 exec, exec, s[10:11]
.LBB17_2039:
	s_or_b64 exec, exec, s[2:3]
	s_mov_b64 s[2:3], 0
	global_store_byte v[0:1], v4, off
.LBB17_2040:
	s_and_b64 vcc, exec, s[2:3]
	s_cbranch_vccz .LBB17_2050
; %bb.2041:
	v_and_b32_e32 v4, 0x7fffffff, v6
	s_mov_b32 s2, 0x43f00000
	v_cmp_gt_u32_e32 vcc, s2, v4
                                        ; implicit-def: $vgpr3
	s_and_saveexec_b64 s[2:3], vcc
	s_xor_b64 s[2:3], exec, s[2:3]
	s_cbranch_execz .LBB17_2047
; %bb.2042:
	s_mov_b32 s8, 0x3c7fffff
	v_cmp_lt_u32_e32 vcc, s8, v4
                                        ; implicit-def: $vgpr3
	s_and_saveexec_b64 s[8:9], vcc
	s_xor_b64 s[8:9], exec, s[8:9]
; %bb.2043:
	v_bfe_u32 v3, v6, 20, 1
	s_mov_b32 s10, 0x407ffff
	v_add3_u32 v3, v6, v3, s10
	v_lshrrev_b32_e32 v4, 20, v3
	v_and_b32_e32 v3, 0xff00000, v3
	s_mov_b32 s10, 0x7f00000
	v_mov_b32_e32 v5, 0x7e
	v_cmp_ne_u32_e32 vcc, s10, v3
	v_cndmask_b32_e32 v3, v5, v4, vcc
; %bb.2044:
	s_andn2_saveexec_b64 s[8:9], s[8:9]
; %bb.2045:
	s_mov_b32 s10, 0x46800000
	v_add_f32_e64 v3, |v6|, s10
; %bb.2046:
	s_or_b64 exec, exec, s[8:9]
                                        ; implicit-def: $vgpr4
.LBB17_2047:
	s_andn2_saveexec_b64 s[2:3], s[2:3]
; %bb.2048:
	s_mov_b32 s8, 0x7f800000
	v_mov_b32_e32 v3, 0x7e
	v_mov_b32_e32 v5, 0x7f
	v_cmp_lt_u32_e32 vcc, s8, v4
	v_cndmask_b32_e32 v3, v3, v5, vcc
; %bb.2049:
	s_or_b64 exec, exec, s[2:3]
	v_lshrrev_b32_e32 v4, 24, v6
	s_movk_i32 s2, 0x80
	v_and_or_b32 v3, v4, s2, v3
	global_store_byte v[0:1], v3, off
.LBB17_2050:
	s_mov_b64 s[2:3], 0
.LBB17_2051:
	s_andn2_b64 vcc, exec, s[2:3]
	s_cbranch_vccnz .LBB17_2061
; %bb.2052:
	v_and_b32_e32 v4, 0x7fffffff, v6
	s_mov_b32 s2, 0x47800000
	v_cmp_gt_u32_e32 vcc, s2, v4
                                        ; implicit-def: $vgpr3
	s_and_saveexec_b64 s[2:3], vcc
	s_xor_b64 s[2:3], exec, s[2:3]
	s_cbranch_execz .LBB17_2058
; %bb.2053:
	s_mov_b32 s8, 0x387fffff
	v_cmp_lt_u32_e32 vcc, s8, v4
                                        ; implicit-def: $vgpr3
	s_and_saveexec_b64 s[8:9], vcc
	s_xor_b64 s[8:9], exec, s[8:9]
; %bb.2054:
	v_bfe_u32 v3, v6, 21, 1
	s_mov_b32 s10, 0x80fffff
	v_add3_u32 v3, v6, v3, s10
	v_lshrrev_b32_e32 v3, 21, v3
; %bb.2055:
	s_andn2_saveexec_b64 s[8:9], s[8:9]
; %bb.2056:
	s_mov_b32 s10, 0x43000000
	v_add_f32_e64 v3, |v6|, s10
; %bb.2057:
	s_or_b64 exec, exec, s[8:9]
                                        ; implicit-def: $vgpr4
.LBB17_2058:
	s_andn2_saveexec_b64 s[2:3], s[2:3]
; %bb.2059:
	s_mov_b32 s8, 0x7f800000
	v_mov_b32_e32 v3, 0x7c
	v_mov_b32_e32 v5, 0x7f
	v_cmp_lt_u32_e32 vcc, s8, v4
	v_cndmask_b32_e32 v3, v3, v5, vcc
; %bb.2060:
	s_or_b64 exec, exec, s[2:3]
	v_lshrrev_b32_e32 v4, 24, v6
	s_movk_i32 s2, 0x80
	v_and_or_b32 v3, v4, s2, v3
	global_store_byte v[0:1], v3, off
.LBB17_2061:
	s_mov_b64 s[2:3], 0
.LBB17_2062:
	s_andn2_b64 vcc, exec, s[2:3]
	s_mov_b64 s[2:3], 0
	s_cbranch_vccnz .LBB17_2069
; %bb.2063:
	v_cmp_lt_i16_e32 vcc, 14, v2
	s_mov_b64 s[8:9], -1
	s_cbranch_vccz .LBB17_2067
; %bb.2064:
	v_cmp_eq_u16_e32 vcc, 15, v2
	s_mov_b64 s[0:1], -1
	s_cbranch_vccz .LBB17_2066
; %bb.2065:
	v_bfe_u32 v3, v6, 16, 1
	s_movk_i32 s0, 0x7fff
	v_add3_u32 v3, v6, v3, s0
	v_lshrrev_b32_e32 v3, 16, v3
	v_mov_b32_e32 v4, 0x7fc0
	v_cmp_o_f32_e32 vcc, v6, v6
	v_cndmask_b32_e32 v3, v4, v3, vcc
	global_store_short v[0:1], v3, off
	s_mov_b64 s[0:1], 0
.LBB17_2066:
	s_mov_b64 s[8:9], 0
.LBB17_2067:
	s_and_b64 vcc, exec, s[8:9]
	s_cbranch_vccz .LBB17_2069
; %bb.2068:
	v_cmp_ne_u16_e64 s[0:1], 11, v2
	s_mov_b64 s[2:3], -1
.LBB17_2069:
	s_and_b64 vcc, exec, s[0:1]
	s_cbranch_vccnz .LBB17_2080
.LBB17_2070:
	s_mov_b64 s[0:1], 0
	s_branch .LBB17_1581
.LBB17_2071:
	s_mov_b64 s[0:1], 0
                                        ; implicit-def: $vgpr2
                                        ; implicit-def: $vgpr0_vgpr1
	s_branch .LBB17_1580
.LBB17_2072:
	s_mov_b64 s[2:3], 0
	s_mov_b64 s[0:1], -1
	s_branch .LBB17_1581
.LBB17_2073:
	s_or_saveexec_b64 s[16:17], s[16:17]
                                        ; implicit-def: $sgpr19
	s_xor_b64 exec, exec, s[16:17]
	s_cbranch_execz .LBB17_1905
.LBB17_2074:
	s_mov_b32 s19, 0x46000000
	v_add_f32_e64 v3, |v4|, s19
	v_and_b32_e32 v3, 0xff, v3
	v_cmp_ne_u32_e32 vcc, 0, v3
	s_andn2_b64 s[12:13], s[12:13], exec
	s_and_b64 s[20:21], vcc, exec
	s_mov_b32 s19, 0
	s_or_b64 s[12:13], s[12:13], s[20:21]
	s_or_b64 exec, exec, s[16:17]
	v_mov_b32_e32 v5, s19
	s_and_saveexec_b64 s[16:17], s[12:13]
	s_cbranch_execnz .LBB17_1906
	s_branch .LBB17_1907
.LBB17_2075:
	s_trap 2
	s_or_b64 s[14:15], s[14:15], exec
	s_cbranch_execz .LBB17_1953
	s_branch .LBB17_1954
.LBB17_2076:
	s_or_saveexec_b64 s[12:13], s[12:13]
                                        ; implicit-def: $sgpr16
	s_xor_b64 exec, exec, s[12:13]
	s_cbranch_execz .LBB17_1918
.LBB17_2077:
	s_mov_b32 s16, 0x42800000
	v_add_f32_e64 v3, |v4|, s16
	v_and_b32_e32 v3, 0xff, v3
	v_cmp_ne_u32_e32 vcc, 0, v3
	s_andn2_b64 s[10:11], s[10:11], exec
	s_and_b64 s[20:21], vcc, exec
	s_mov_b32 s16, 0
	s_or_b64 s[10:11], s[10:11], s[20:21]
	s_or_b64 exec, exec, s[12:13]
	v_mov_b32_e32 v5, s16
	s_and_saveexec_b64 s[12:13], s[10:11]
	s_cbranch_execnz .LBB17_1919
	s_branch .LBB17_1920
.LBB17_2078:
	s_or_saveexec_b64 s[12:13], s[12:13]
                                        ; implicit-def: $sgpr16
	s_xor_b64 exec, exec, s[12:13]
	s_cbranch_execz .LBB17_2024
.LBB17_2079:
	s_mov_b32 s16, 0x46000000
	v_add_f32_e64 v3, |v6|, s16
	v_and_b32_e32 v3, 0xff, v3
	v_cmp_ne_u32_e32 vcc, 0, v3
	s_andn2_b64 s[10:11], s[10:11], exec
	s_and_b64 s[18:19], vcc, exec
	s_mov_b32 s16, 0
	s_or_b64 s[10:11], s[10:11], s[18:19]
	s_or_b64 exec, exec, s[12:13]
	v_mov_b32_e32 v4, s16
	s_and_saveexec_b64 s[12:13], s[10:11]
	s_cbranch_execnz .LBB17_2025
	s_branch .LBB17_2026
.LBB17_2080:
	s_mov_b64 s[2:3], 0
	s_or_b64 s[14:15], s[14:15], exec
	s_trap 2
	s_branch .LBB17_2070
.LBB17_2081:
	s_or_saveexec_b64 s[10:11], s[10:11]
                                        ; implicit-def: $sgpr12
	s_xor_b64 exec, exec, s[10:11]
	s_cbranch_execz .LBB17_2036
.LBB17_2082:
	s_mov_b32 s12, 0x42800000
	v_add_f32_e64 v3, |v6|, s12
	v_and_b32_e32 v3, 0xff, v3
	v_cmp_ne_u32_e32 vcc, 0, v3
	s_andn2_b64 s[8:9], s[8:9], exec
	s_and_b64 s[16:17], vcc, exec
	s_mov_b32 s12, 0
	s_or_b64 s[8:9], s[8:9], s[16:17]
	s_or_b64 exec, exec, s[10:11]
	v_mov_b32_e32 v4, s12
	s_and_saveexec_b64 s[10:11], s[8:9]
	s_cbranch_execnz .LBB17_2037
	s_branch .LBB17_2038
	.section	.rodata,"a",@progbits
	.p2align	6, 0x0
	.amdhsa_kernel _ZN2at6native32elementwise_kernel_manual_unrollILi128ELi4EZNS0_15gpu_kernel_implIZZZNS0_12_GLOBAL__N_130modified_bessel_i0_kernel_cudaERNS_18TensorIteratorBaseEENKUlvE_clEvENKUlvE0_clEvEUlfE_EEvS5_RKT_EUlibE_EEviT1_
		.amdhsa_group_segment_fixed_size 0
		.amdhsa_private_segment_fixed_size 0
		.amdhsa_kernarg_size 40
		.amdhsa_user_sgpr_count 6
		.amdhsa_user_sgpr_private_segment_buffer 1
		.amdhsa_user_sgpr_dispatch_ptr 0
		.amdhsa_user_sgpr_queue_ptr 0
		.amdhsa_user_sgpr_kernarg_segment_ptr 1
		.amdhsa_user_sgpr_dispatch_id 0
		.amdhsa_user_sgpr_flat_scratch_init 0
		.amdhsa_user_sgpr_kernarg_preload_length 0
		.amdhsa_user_sgpr_kernarg_preload_offset 0
		.amdhsa_user_sgpr_private_segment_size 0
		.amdhsa_uses_dynamic_stack 0
		.amdhsa_system_sgpr_private_segment_wavefront_offset 0
		.amdhsa_system_sgpr_workgroup_id_x 1
		.amdhsa_system_sgpr_workgroup_id_y 0
		.amdhsa_system_sgpr_workgroup_id_z 0
		.amdhsa_system_sgpr_workgroup_info 0
		.amdhsa_system_vgpr_workitem_id 0
		.amdhsa_next_free_vgpr 16
		.amdhsa_next_free_sgpr 42
		.amdhsa_accum_offset 16
		.amdhsa_reserve_vcc 1
		.amdhsa_reserve_flat_scratch 0
		.amdhsa_float_round_mode_32 0
		.amdhsa_float_round_mode_16_64 0
		.amdhsa_float_denorm_mode_32 3
		.amdhsa_float_denorm_mode_16_64 3
		.amdhsa_dx10_clamp 1
		.amdhsa_ieee_mode 1
		.amdhsa_fp16_overflow 0
		.amdhsa_tg_split 0
		.amdhsa_exception_fp_ieee_invalid_op 0
		.amdhsa_exception_fp_denorm_src 0
		.amdhsa_exception_fp_ieee_div_zero 0
		.amdhsa_exception_fp_ieee_overflow 0
		.amdhsa_exception_fp_ieee_underflow 0
		.amdhsa_exception_fp_ieee_inexact 0
		.amdhsa_exception_int_div_zero 0
	.end_amdhsa_kernel
	.section	.text._ZN2at6native32elementwise_kernel_manual_unrollILi128ELi4EZNS0_15gpu_kernel_implIZZZNS0_12_GLOBAL__N_130modified_bessel_i0_kernel_cudaERNS_18TensorIteratorBaseEENKUlvE_clEvENKUlvE0_clEvEUlfE_EEvS5_RKT_EUlibE_EEviT1_,"axG",@progbits,_ZN2at6native32elementwise_kernel_manual_unrollILi128ELi4EZNS0_15gpu_kernel_implIZZZNS0_12_GLOBAL__N_130modified_bessel_i0_kernel_cudaERNS_18TensorIteratorBaseEENKUlvE_clEvENKUlvE0_clEvEUlfE_EEvS5_RKT_EUlibE_EEviT1_,comdat
.Lfunc_end17:
	.size	_ZN2at6native32elementwise_kernel_manual_unrollILi128ELi4EZNS0_15gpu_kernel_implIZZZNS0_12_GLOBAL__N_130modified_bessel_i0_kernel_cudaERNS_18TensorIteratorBaseEENKUlvE_clEvENKUlvE0_clEvEUlfE_EEvS5_RKT_EUlibE_EEviT1_, .Lfunc_end17-_ZN2at6native32elementwise_kernel_manual_unrollILi128ELi4EZNS0_15gpu_kernel_implIZZZNS0_12_GLOBAL__N_130modified_bessel_i0_kernel_cudaERNS_18TensorIteratorBaseEENKUlvE_clEvENKUlvE0_clEvEUlfE_EEvS5_RKT_EUlibE_EEviT1_
                                        ; -- End function
	.section	.AMDGPU.csdata,"",@progbits
; Kernel info:
; codeLenInByte = 45592
; NumSgprs: 46
; NumVgprs: 16
; NumAgprs: 0
; TotalNumVgprs: 16
; ScratchSize: 0
; MemoryBound: 1
; FloatMode: 240
; IeeeMode: 1
; LDSByteSize: 0 bytes/workgroup (compile time only)
; SGPRBlocks: 5
; VGPRBlocks: 1
; NumSGPRsForWavesPerEU: 46
; NumVGPRsForWavesPerEU: 16
; AccumOffset: 16
; Occupancy: 8
; WaveLimiterHint : 0
; COMPUTE_PGM_RSRC2:SCRATCH_EN: 0
; COMPUTE_PGM_RSRC2:USER_SGPR: 6
; COMPUTE_PGM_RSRC2:TRAP_HANDLER: 0
; COMPUTE_PGM_RSRC2:TGID_X_EN: 1
; COMPUTE_PGM_RSRC2:TGID_Y_EN: 0
; COMPUTE_PGM_RSRC2:TGID_Z_EN: 0
; COMPUTE_PGM_RSRC2:TIDIG_COMP_CNT: 0
; COMPUTE_PGM_RSRC3_GFX90A:ACCUM_OFFSET: 3
; COMPUTE_PGM_RSRC3_GFX90A:TG_SPLIT: 0
	.section	.text._ZN2at6native32elementwise_kernel_manual_unrollILi128ELi4EZNS0_15gpu_kernel_implIZZZNS0_12_GLOBAL__N_130modified_bessel_i0_kernel_cudaERNS_18TensorIteratorBaseEENKUlvE_clEvENKUlvE0_clEvEUlfE_EEvS5_RKT_EUlibE0_EEviT1_,"axG",@progbits,_ZN2at6native32elementwise_kernel_manual_unrollILi128ELi4EZNS0_15gpu_kernel_implIZZZNS0_12_GLOBAL__N_130modified_bessel_i0_kernel_cudaERNS_18TensorIteratorBaseEENKUlvE_clEvENKUlvE0_clEvEUlfE_EEvS5_RKT_EUlibE0_EEviT1_,comdat
	.globl	_ZN2at6native32elementwise_kernel_manual_unrollILi128ELi4EZNS0_15gpu_kernel_implIZZZNS0_12_GLOBAL__N_130modified_bessel_i0_kernel_cudaERNS_18TensorIteratorBaseEENKUlvE_clEvENKUlvE0_clEvEUlfE_EEvS5_RKT_EUlibE0_EEviT1_ ; -- Begin function _ZN2at6native32elementwise_kernel_manual_unrollILi128ELi4EZNS0_15gpu_kernel_implIZZZNS0_12_GLOBAL__N_130modified_bessel_i0_kernel_cudaERNS_18TensorIteratorBaseEENKUlvE_clEvENKUlvE0_clEvEUlfE_EEvS5_RKT_EUlibE0_EEviT1_
	.p2align	8
	.type	_ZN2at6native32elementwise_kernel_manual_unrollILi128ELi4EZNS0_15gpu_kernel_implIZZZNS0_12_GLOBAL__N_130modified_bessel_i0_kernel_cudaERNS_18TensorIteratorBaseEENKUlvE_clEvENKUlvE0_clEvEUlfE_EEvS5_RKT_EUlibE0_EEviT1_,@function
_ZN2at6native32elementwise_kernel_manual_unrollILi128ELi4EZNS0_15gpu_kernel_implIZZZNS0_12_GLOBAL__N_130modified_bessel_i0_kernel_cudaERNS_18TensorIteratorBaseEENKUlvE_clEvENKUlvE0_clEvEUlfE_EEvS5_RKT_EUlibE0_EEviT1_: ; @_ZN2at6native32elementwise_kernel_manual_unrollILi128ELi4EZNS0_15gpu_kernel_implIZZZNS0_12_GLOBAL__N_130modified_bessel_i0_kernel_cudaERNS_18TensorIteratorBaseEENKUlvE_clEvENKUlvE0_clEvEUlfE_EEvS5_RKT_EUlibE0_EEviT1_
; %bb.0:
	s_load_dword s72, s[4:5], 0x0
	s_load_dword s33, s[4:5], 0x8
	s_or_b32 s34, s4, 8
	v_lshl_or_b32 v12, s6, 9, v0
	v_or_b32_e32 v15, 0x180, v12
	s_mov_b32 s35, s5
	s_waitcnt lgkmcnt(0)
	s_add_i32 s74, s33, -1
	s_cmp_gt_u32 s74, 1
	v_cmp_le_i32_e32 vcc, s72, v15
	s_cselect_b64 s[40:41], -1, 0
	s_mov_b64 s[6:7], 0
	s_mov_b64 s[28:29], 0
	s_and_saveexec_b64 s[0:1], vcc
	s_xor_b64 s[42:43], exec, s[0:1]
	s_cbranch_execz .LBB18_1106
; %bb.1:
	v_mov_b32_e32 v0, 0
	global_load_ushort v6, v0, s[34:35] offset:345
	s_load_dwordx4 s[36:39], s[34:35], 0x4
	s_load_dwordx2 s[44:45], s[34:35], 0x14
	s_load_dwordx4 s[28:31], s[34:35], 0xc4
	s_load_dwordx4 s[24:27], s[34:35], 0x148
	s_cmp_lg_u32 s33, 0
	s_cselect_b64 s[50:51], -1, 0
	s_add_u32 s48, s34, 0xc4
	s_addc_u32 s49, s35, 0
	s_min_u32 s73, s74, 15
	s_cmp_gt_u32 s33, 1
	v_cmp_gt_i32_e32 vcc, s72, v12
	s_mov_b64 s[2:3], -1
	s_mov_b64 s[60:61], 0
	s_mov_b64 s[54:55], 0
	s_cselect_b64 s[46:47], -1, 0
	s_mov_b64 s[52:53], 0
	s_waitcnt vmcnt(0)
	v_lshrrev_b16_e32 v4, 8, v6
	s_and_saveexec_b64 s[56:57], vcc
	s_cbranch_execz .LBB18_271
; %bb.2:
	s_andn2_b64 vcc, exec, s[40:41]
	s_cbranch_vccnz .LBB18_8
; %bb.3:
	s_mov_b32 s52, 0
	s_andn2_b64 vcc, exec, s[50:51]
	v_mov_b32_e32 v2, 0
	v_mov_b32_e32 v0, 0
	s_cbranch_vccnz .LBB18_14
; %bb.4:
	s_add_i32 s62, s73, 1
	s_cmp_eq_u32 s74, 2
	s_cbranch_scc1 .LBB18_9
; %bb.5:
	s_and_b32 s52, s62, 28
	s_mov_b32 s53, 0
	v_mov_b32_e32 v0, 0
	s_mov_b64 s[54:55], s[34:35]
	s_mov_b64 s[58:59], s[48:49]
	v_mov_b32_e32 v3, v12
	v_mov_b32_e32 v2, 0
.LBB18_6:                               ; =>This Inner Loop Header: Depth=1
	s_load_dwordx8 s[16:23], s[54:55], 0x4
	s_load_dwordx4 s[0:3], s[54:55], 0x24
	s_load_dwordx8 s[8:15], s[58:59], 0x0
	s_add_u32 s54, s54, 48
	s_addc_u32 s55, s55, 0
	s_waitcnt lgkmcnt(0)
	v_mul_hi_u32 v1, s17, v3
	v_add_u32_e32 v1, v3, v1
	v_lshrrev_b32_e32 v1, s18, v1
	v_mul_lo_u32 v5, v1, s16
	v_mul_hi_u32 v7, s20, v1
	v_sub_u32_e32 v3, v3, v5
	v_add_u32_e32 v5, v1, v7
	v_lshrrev_b32_e32 v5, s21, v5
	v_mul_lo_u32 v8, v5, s19
	v_mul_hi_u32 v9, s23, v5
	v_sub_u32_e32 v1, v1, v8
	v_add_u32_e32 v8, v5, v9
	v_mul_lo_u32 v7, v3, s9
	v_mul_lo_u32 v3, v3, s8
	;; [unrolled: 1-line block ×4, first 2 shown]
	v_lshrrev_b32_e32 v8, s0, v8
	v_add3_u32 v0, v3, v0, v1
	v_mul_hi_u32 v3, s2, v8
	v_add_u32_e32 v3, v8, v3
	v_lshrrev_b32_e32 v3, s3, v3
	s_add_i32 s53, s53, 4
	v_add3_u32 v1, v7, v2, v9
	v_mul_lo_u32 v2, v8, s22
	v_mul_lo_u32 v7, v3, s1
	s_add_u32 s58, s58, 32
	v_sub_u32_e32 v2, v5, v2
	v_sub_u32_e32 v7, v8, v7
	s_addc_u32 s59, s59, 0
	v_mul_lo_u32 v5, v2, s12
	v_mul_lo_u32 v2, v2, s13
	;; [unrolled: 1-line block ×4, first 2 shown]
	s_cmp_lg_u32 s52, s53
	v_add3_u32 v2, v2, v1, v7
	v_add3_u32 v0, v5, v0, v8
	s_cbranch_scc1 .LBB18_6
; %bb.7:
	v_mov_b32_e32 v1, v2
	s_branch .LBB18_10
.LBB18_8:
                                        ; implicit-def: $vgpr2
                                        ; implicit-def: $vgpr0
	s_branch .LBB18_15
.LBB18_9:
	s_mov_b32 s53, s52
	v_pk_mov_b32 v[0:1], s[52:53], s[52:53] op_sel:[0,1]
                                        ; implicit-def: $vgpr2
	v_mov_b32_e32 v3, v12
.LBB18_10:
	s_and_b32 s8, s62, 3
	s_cmp_eq_u32 s8, 0
	s_cbranch_scc1 .LBB18_14
; %bb.11:
	s_lshl_b32 s0, s52, 3
	s_add_u32 s0, s0, s34
	s_addc_u32 s1, s35, 0
	s_add_u32 s0, s0, 0xc4
	s_addc_u32 s1, s1, 0
	s_mul_i32 s2, s52, 12
	s_add_u32 s2, s34, s2
	s_addc_u32 s3, s35, 0
.LBB18_12:                              ; =>This Inner Loop Header: Depth=1
	s_load_dwordx2 s[10:11], s[2:3], 0x4
	s_load_dword s9, s[2:3], 0xc
	s_load_dwordx2 s[12:13], s[0:1], 0x0
	v_mov_b32_e32 v2, v1
	s_add_u32 s2, s2, 12
	s_waitcnt lgkmcnt(0)
	v_mul_hi_u32 v1, s11, v3
	v_add_u32_e32 v1, v3, v1
	v_lshrrev_b32_e32 v1, s9, v1
	s_addc_u32 s3, s3, 0
	v_mul_lo_u32 v5, v1, s10
	s_add_u32 s0, s0, 8
	v_sub_u32_e32 v5, v3, v5
	v_mov_b32_e32 v3, v1
	s_addc_u32 s1, s1, 0
	s_add_i32 s8, s8, -1
	v_mad_u64_u32 v[8:9], s[10:11], v5, s13, v[2:3]
	v_mad_u64_u32 v[0:1], s[10:11], v5, s12, v[0:1]
	s_cmp_lg_u32 s8, 0
	v_mov_b32_e32 v1, v8
	s_cbranch_scc1 .LBB18_12
; %bb.13:
	v_mov_b32_e32 v2, v1
.LBB18_14:
	s_cbranch_execnz .LBB18_17
.LBB18_15:
	s_waitcnt lgkmcnt(0)
	v_mul_hi_u32 v0, s37, v12
	v_add_u32_e32 v0, v12, v0
	v_lshrrev_b32_e32 v1, s38, v0
	v_mul_lo_u32 v0, v1, s36
	v_sub_u32_e32 v0, v12, v0
	v_mul_lo_u32 v2, v0, s29
	s_andn2_b64 vcc, exec, s[46:47]
	v_mul_lo_u32 v0, v0, s28
	s_cbranch_vccnz .LBB18_17
; %bb.16:
	v_mul_hi_u32 v3, s44, v1
	v_add_u32_e32 v3, v1, v3
	v_lshrrev_b32_e32 v3, s45, v3
	v_mul_lo_u32 v3, v3, s39
	v_sub_u32_e32 v3, v1, v3
	v_mad_u64_u32 v[0:1], s[0:1], v3, s30, v[0:1]
	v_mad_u64_u32 v[2:3], s[0:1], v3, s31, v[2:3]
.LBB18_17:
	s_waitcnt lgkmcnt(0)
	v_mov_b32_e32 v1, s27
	v_add_co_u32_e32 v2, vcc, s26, v2
	v_addc_co_u32_e32 v3, vcc, 0, v1, vcc
	v_cmp_gt_i16_e32 vcc, 11, v4
	s_cbranch_vccnz .LBB18_24
; %bb.18:
	v_cmp_lt_i16_e32 vcc, 25, v4
	s_cbranch_vccz .LBB18_37
; %bb.19:
	v_cmp_lt_i16_e32 vcc, 28, v4
	s_cbranch_vccz .LBB18_40
	;; [unrolled: 3-line block ×4, first 2 shown]
; %bb.22:
	v_cmp_eq_u16_e32 vcc, 46, v4
	s_mov_b64 s[8:9], 0
	s_cbranch_vccz .LBB18_46
; %bb.23:
	global_load_dword v1, v[2:3], off
	s_mov_b64 s[0:1], -1
	s_mov_b64 s[2:3], 0
	s_waitcnt vmcnt(0)
	v_lshlrev_b32_e32 v1, 16, v1
	s_branch .LBB18_48
.LBB18_24:
	s_mov_b64 s[2:3], 0
                                        ; implicit-def: $vgpr1
	s_mov_b64 s[0:1], 0
	s_cbranch_execnz .LBB18_221
.LBB18_25:
	s_andn2_b64 vcc, exec, s[0:1]
	s_cbranch_vccnz .LBB18_268
.LBB18_26:
	s_mov_b32 s0, 0x41000000
	s_waitcnt vmcnt(0)
	v_cmp_le_f32_e64 s[0:1], |v1|, s0
                                        ; implicit-def: $vgpr2
	s_and_saveexec_b64 s[8:9], s[0:1]
	s_xor_b64 s[0:1], exec, s[8:9]
	s_cbranch_execz .LBB18_28
; %bb.27:
	v_fma_f32 v2, |v1|, 0.5, -2.0
	v_mov_b32_e32 v3, 0x24199b15
	v_fmac_f32_e32 v3, 0xa2a2e5b9, v2
	v_mov_b32_e32 v5, 0x22a2e5b9
	v_fmac_f32_e32 v5, v2, v3
	v_add_f32_e32 v5, 0xa58c275c, v5
	v_fma_f32 v3, v2, v5, -v3
	v_add_f32_e32 v3, 0x26f736c5, v3
	v_fma_f32 v5, v2, v3, -v5
	;; [unrolled: 2-line block ×22, first 2 shown]
	v_add_f32_e32 v5, 0xbcc274f8, v5
	s_mov_b32 s8, 0x3fb8aa3b
	v_fma_f32 v3, v2, v5, -v3
	v_mul_f32_e64 v7, |v1|, s8
	v_add_f32_e32 v3, 0x3d49f456, v3
	v_rndne_f32_e32 v8, v7
	v_fma_f32 v5, v2, v3, -v5
	v_sub_f32_e32 v9, v7, v8
	v_fma_f32 v7, |v1|, s8, -v7
	s_mov_b32 s8, 0x32a5705f
	v_add_f32_e32 v5, 0xbdc25b82, v5
	v_fma_f32 v7, |v1|, s8, v7
	v_fma_f32 v3, v2, v5, -v3
	v_add_f32_e32 v7, v9, v7
	v_add_f32_e32 v3, 0x3e2fbd64, v3
	v_exp_f32_e32 v7, v7
	v_cvt_i32_f32_e32 v8, v8
	v_fma_f32 v5, v2, v3, -v5
	v_add_f32_e32 v5, 0xbe9bff5e, v5
	v_fma_f32 v2, v2, v5, -v3
	s_mov_b32 s8, 0xc2ce8ed0
	v_add_f32_e32 v2, 0x3f2d4275, v2
	v_ldexp_f32 v5, v7, v8
	v_cmp_nlt_f32_e64 vcc, |v1|, s8
	s_mov_b32 s8, 0x42b17218
	v_cndmask_b32_e32 v5, 0, v5, vcc
	v_mov_b32_e32 v7, 0x7f800000
	v_cmp_ngt_f32_e64 vcc, |v1|, s8
	v_sub_f32_e32 v2, v2, v3
	v_cndmask_b32_e32 v1, v7, v5, vcc
	v_mul_f32_e32 v2, 0.5, v2
	v_mul_f32_e32 v2, v1, v2
                                        ; implicit-def: $vgpr1
.LBB18_28:
	s_andn2_saveexec_b64 s[8:9], s[0:1]
	s_cbranch_execz .LBB18_30
; %bb.29:
	v_and_b32_e32 v2, 0x7fffffff, v1
	s_mov_b32 s10, 0x42000000
	v_div_scale_f32 v3, s[0:1], v2, v2, s10
	v_rcp_f32_e32 v5, v3
	v_div_scale_f32 v2, vcc, s10, v2, s10
	s_mov_b32 s0, 0x3fb8aa3b
	v_fma_f32 v7, -v3, v5, 1.0
	v_fmac_f32_e32 v5, v7, v5
	v_mul_f32_e32 v7, v2, v5
	v_fma_f32 v8, -v3, v7, v2
	v_fmac_f32_e32 v7, v8, v5
	v_fma_f32 v2, -v3, v7, v2
	v_div_fmas_f32 v2, v2, v5, v7
	v_div_fixup_f32 v2, v2, |v1|, s10
	v_add_f32_e32 v2, -2.0, v2
	v_mov_b32_e32 v3, 0xa2b236d3
	v_fmac_f32_e32 v3, 0xa3056dbb, v2
	v_mov_b32_e32 v5, 0x23056dbb
	v_fmac_f32_e32 v5, v2, v3
	v_add_f32_e32 v5, 0x244df0c1, v5
	v_fma_f32 v3, v2, v5, -v3
	v_add_f32_e32 v3, 0x241f9ee8, v3
	v_fma_f32 v5, v2, v3, -v5
	;; [unrolled: 2-line block ×17, first 2 shown]
	v_add_f32_e32 v3, 0x32c2b494, v3
	v_mul_f32_e64 v7, |v1|, s0
	v_fma_f32 v5, v2, v3, -v5
	v_rndne_f32_e32 v8, v7
	v_add_f32_e32 v5, 0x345c003f, v5
	v_sub_f32_e32 v9, v7, v8
	v_fma_f32 v7, |v1|, s0, -v7
	s_mov_b32 s0, 0x32a5705f
	v_fma_f32 v3, v2, v5, -v3
	v_fma_f32 v7, |v1|, s0, v7
	v_add_f32_e32 v3, 0x3642095e, v3
	v_add_f32_e32 v7, v9, v7
	v_fma_f32 v5, v2, v3, -v5
	v_exp_f32_e32 v7, v7
	v_cvt_i32_f32_e32 v8, v8
	v_add_f32_e32 v5, 0x38907d1c, v5
	v_fma_f32 v3, v2, v5, -v3
	v_add_f32_e32 v3, 0x3b5ccc65, v3
	s_mov_b32 s0, 0xc2ce8ed0
	v_fma_f32 v2, v2, v3, -v5
	v_ldexp_f32 v3, v7, v8
	v_cmp_nlt_f32_e64 vcc, |v1|, s0
	s_mov_b32 s0, 0x42b17218
	v_cndmask_b32_e32 v3, 0, v3, vcc
	v_mov_b32_e32 v7, 0x7f800000
	v_cmp_ngt_f32_e64 vcc, |v1|, s0
	s_mov_b32 s0, 0xf800000
	s_mov_b32 s1, 0x4f800000
	v_cndmask_b32_e32 v3, v7, v3, vcc
	v_mul_f32_e64 v7, |v1|, s1
	v_cmp_lt_f32_e64 vcc, |v1|, s0
	v_cndmask_b32_e64 v1, |v1|, v7, vcc
	v_sqrt_f32_e32 v7, v1
	v_add_f32_e32 v2, 0x3f4df315, v2
	v_sub_f32_e32 v2, v2, v5
	v_mul_f32_e32 v2, 0.5, v2
	v_mul_f32_e32 v2, v3, v2
	v_add_u32_e32 v3, -1, v7
	v_fma_f32 v5, -v3, v7, v1
	v_cmp_ge_f32_e64 s[0:1], 0, v5
	v_add_u32_e32 v5, 1, v7
	v_cndmask_b32_e64 v3, v7, v3, s[0:1]
	v_fma_f32 v7, -v5, v7, v1
	v_cmp_lt_f32_e64 s[0:1], 0, v7
	v_cndmask_b32_e64 v3, v3, v5, s[0:1]
	v_mul_f32_e32 v5, 0x37800000, v3
	v_cndmask_b32_e32 v3, v3, v5, vcc
	v_mov_b32_e32 v5, 0x260
	v_cmp_class_f32_e32 vcc, v1, v5
	v_cndmask_b32_e32 v1, v3, v1, vcc
	v_div_scale_f32 v3, s[0:1], v1, v1, v2
	v_rcp_f32_e32 v5, v3
	v_fma_f32 v7, -v3, v5, 1.0
	v_fmac_f32_e32 v5, v7, v5
	v_div_scale_f32 v7, vcc, v2, v1, v2
	v_mul_f32_e32 v8, v7, v5
	v_fma_f32 v9, -v3, v8, v7
	v_fmac_f32_e32 v8, v9, v5
	v_fma_f32 v3, -v3, v8, v7
	v_div_fmas_f32 v3, v3, v5, v8
	v_div_fixup_f32 v2, v3, v1, v2
.LBB18_30:
	s_or_b64 exec, exec, s[8:9]
	v_mov_b32_e32 v1, s25
	v_add_co_u32_e32 v0, vcc, s24, v0
	v_mov_b32_e32 v3, 11
	v_addc_co_u32_e32 v1, vcc, 0, v1, vcc
	v_cmp_lt_i16_sdwa s[0:1], v6, v3 src0_sel:BYTE_0 src1_sel:DWORD
	s_and_b64 vcc, exec, s[0:1]
	s_cbranch_vccnz .LBB18_38
; %bb.31:
	v_mov_b32_e32 v3, 25
	v_cmp_gt_i16_sdwa s[0:1], v6, v3 src0_sel:BYTE_0 src1_sel:DWORD
	s_and_b64 vcc, exec, s[0:1]
	s_cbranch_vccz .LBB18_41
; %bb.32:
	v_mov_b32_e32 v3, 28
	v_cmp_gt_i16_sdwa s[0:1], v6, v3 src0_sel:BYTE_0 src1_sel:DWORD
	s_and_b64 vcc, exec, s[0:1]
	s_cbranch_vccz .LBB18_43
	;; [unrolled: 5-line block ×4, first 2 shown]
; %bb.35:
	v_mov_b32_e32 v3, 46
	v_cmp_eq_u16_sdwa s[8:9], v6, v3 src0_sel:BYTE_0 src1_sel:DWORD
	s_mov_b64 s[10:11], 0
	s_mov_b64 s[0:1], -1
	s_and_b64 vcc, exec, s[8:9]
	s_mov_b64 s[8:9], 0
	s_cbranch_vccz .LBB18_52
; %bb.36:
	v_bfe_u32 v3, v2, 16, 1
	s_movk_i32 s0, 0x7fff
	v_add3_u32 v3, v2, v3, s0
	v_lshrrev_b32_e32 v3, 16, v3
	v_mov_b32_e32 v5, 0x7fc0
	v_cmp_o_f32_e32 vcc, v2, v2
	v_cndmask_b32_e32 v3, v5, v3, vcc
	global_store_dword v[0:1], v3, off
	s_mov_b64 s[8:9], -1
	s_mov_b64 s[0:1], 0
	s_branch .LBB18_52
.LBB18_37:
	s_mov_b64 s[2:3], 0
	s_mov_b64 s[0:1], 0
                                        ; implicit-def: $vgpr1
	s_cbranch_execnz .LBB18_186
	s_branch .LBB18_220
.LBB18_38:
	s_mov_b64 s[0:1], 0
	s_mov_b64 s[8:9], 0
	s_cbranch_execnz .LBB18_121
.LBB18_39:
	s_andn2_b64 vcc, exec, s[8:9]
	s_cbranch_vccnz .LBB18_269
	s_branch .LBB18_159
.LBB18_40:
	s_mov_b64 s[8:9], -1
	s_mov_b64 s[2:3], 0
	s_mov_b64 s[0:1], 0
                                        ; implicit-def: $vgpr1
	s_branch .LBB18_167
.LBB18_41:
	s_mov_b64 s[10:11], -1
	s_mov_b64 s[0:1], 0
	s_mov_b64 s[8:9], 0
	s_branch .LBB18_79
.LBB18_42:
	s_mov_b64 s[8:9], -1
	s_mov_b64 s[2:3], 0
	s_mov_b64 s[0:1], 0
                                        ; implicit-def: $vgpr1
	s_branch .LBB18_162
.LBB18_43:
	s_mov_b64 s[10:11], -1
	s_mov_b64 s[0:1], 0
	s_mov_b64 s[8:9], 0
	s_branch .LBB18_62
.LBB18_44:
	s_mov_b64 s[8:9], -1
	s_mov_b64 s[2:3], 0
	s_branch .LBB18_47
.LBB18_45:
	s_mov_b64 s[10:11], -1
	s_mov_b64 s[0:1], 0
	s_mov_b64 s[8:9], 0
	s_branch .LBB18_58
.LBB18_46:
	s_mov_b64 s[2:3], -1
.LBB18_47:
	s_mov_b64 s[0:1], 0
                                        ; implicit-def: $vgpr1
.LBB18_48:
	s_and_b64 vcc, exec, s[8:9]
	s_cbranch_vccz .LBB18_161
; %bb.49:
	v_cmp_eq_u16_e32 vcc, 44, v4
	s_cbranch_vccz .LBB18_160
; %bb.50:
	global_load_ubyte v1, v[2:3], off
	s_movk_i32 s2, 0xff
	v_mov_b32_e32 v5, 0x7f800001
	v_mov_b32_e32 v7, 0x400000
	s_mov_b64 s[0:1], -1
	s_waitcnt vmcnt(0)
	v_lshlrev_b32_e32 v8, 23, v1
	v_cmp_ne_u32_e32 vcc, s2, v1
	v_cndmask_b32_e32 v5, v5, v8, vcc
	v_cmp_ne_u32_e32 vcc, 0, v1
	v_cndmask_b32_e32 v1, v7, v5, vcc
	s_mov_b64 s[2:3], 0
	s_branch .LBB18_161
.LBB18_51:
	s_mov_b64 s[10:11], -1
	s_mov_b64 s[0:1], 0
	s_mov_b64 s[8:9], 0
.LBB18_52:
	s_and_b64 vcc, exec, s[10:11]
	s_cbranch_vccz .LBB18_57
; %bb.53:
	v_mov_b32_e32 v3, 44
	v_cmp_eq_u16_sdwa s[10:11], v6, v3 src0_sel:BYTE_0 src1_sel:DWORD
	s_mov_b64 s[0:1], -1
	s_and_b64 vcc, exec, s[10:11]
	s_cbranch_vccz .LBB18_57
; %bb.54:
	v_bfe_u32 v3, v2, 23, 8
	s_movk_i32 s0, 0xff
	v_cmp_ne_u32_e32 vcc, s0, v3
	v_mov_b32_e32 v5, 0xff
	s_and_saveexec_b64 s[8:9], vcc
; %bb.55:
	s_mov_b32 s0, 0x3fffff
	v_and_b32_e32 v7, 0x400000, v2
	v_and_or_b32 v3, v2, s0, v3
	v_cmp_ne_u32_e32 vcc, 0, v7
	v_cmp_ne_u32_e64 s[0:1], 0, v3
	s_and_b64 s[0:1], vcc, s[0:1]
	v_lshrrev_b32_e32 v5, 23, v2
	v_cndmask_b32_e64 v3, 0, 1, s[0:1]
	v_add_u32_e32 v5, v5, v3
; %bb.56:
	s_or_b64 exec, exec, s[8:9]
	s_mov_b64 s[8:9], -1
	s_mov_b64 s[0:1], 0
	global_store_byte v[0:1], v5, off
.LBB18_57:
	s_mov_b64 s[10:11], 0
.LBB18_58:
	s_and_b64 vcc, exec, s[10:11]
	s_cbranch_vccz .LBB18_61
; %bb.59:
	v_mov_b32_e32 v3, 29
	v_cmp_eq_u16_sdwa s[10:11], v6, v3 src0_sel:BYTE_0 src1_sel:DWORD
	s_mov_b64 s[0:1], -1
	s_and_b64 vcc, exec, s[10:11]
	s_cbranch_vccz .LBB18_61
; %bb.60:
	v_trunc_f32_e32 v3, v2
	v_mul_f32_e32 v5, 0x2f800000, v3
	v_floor_f32_e32 v5, v5
	v_fmac_f32_e32 v3, 0xcf800000, v5
	v_cvt_u32_f32_e32 v9, v5
	v_cvt_u32_f32_e32 v8, v3
	s_mov_b64 s[8:9], -1
	s_mov_b64 s[0:1], 0
	s_mov_b64 s[10:11], 0
	global_store_dwordx2 v[0:1], v[8:9], off
	s_branch .LBB18_62
.LBB18_61:
	s_mov_b64 s[10:11], 0
.LBB18_62:
	s_and_b64 vcc, exec, s[10:11]
	s_cbranch_vccz .LBB18_78
; %bb.63:
	v_mov_b32_e32 v3, 27
	v_cmp_lt_i16_sdwa s[10:11], v6, v3 src0_sel:BYTE_0 src1_sel:DWORD
	s_mov_b64 s[8:9], -1
	s_and_b64 vcc, exec, s[10:11]
	s_cbranch_vccnz .LBB18_69
; %bb.64:
	v_cmp_gt_i16_sdwa s[10:11], v6, v3 src0_sel:BYTE_0 src1_sel:DWORD
	v_cvt_u32_f32_e32 v3, v2
	s_and_b64 vcc, exec, s[10:11]
	s_cbranch_vccz .LBB18_66
; %bb.65:
	s_mov_b64 s[8:9], 0
	global_store_dword v[0:1], v3, off
.LBB18_66:
	s_andn2_b64 vcc, exec, s[8:9]
	s_cbranch_vccnz .LBB18_68
; %bb.67:
	global_store_short v[0:1], v3, off
.LBB18_68:
	s_mov_b64 s[8:9], 0
.LBB18_69:
	s_andn2_b64 vcc, exec, s[8:9]
	s_cbranch_vccnz .LBB18_77
; %bb.70:
	v_and_b32_e32 v3, 0x7fffffff, v2
	s_mov_b32 s8, 0x43800000
	v_cmp_gt_u32_e32 vcc, s8, v3
	v_mov_b32_e32 v5, 0x80
	s_and_saveexec_b64 s[8:9], vcc
	s_cbranch_execz .LBB18_76
; %bb.71:
	s_mov_b32 s10, 0x3bffffff
	v_cmp_lt_u32_e32 vcc, s10, v3
	s_mov_b64 s[10:11], 0
                                        ; implicit-def: $vgpr3
	s_and_saveexec_b64 s[12:13], vcc
	s_xor_b64 s[12:13], exec, s[12:13]
	s_cbranch_execz .LBB18_317
; %bb.72:
	v_bfe_u32 v3, v2, 20, 1
	s_mov_b32 s14, 0x487ffff
	v_add3_u32 v3, v2, v3, s14
	s_mov_b64 s[10:11], exec
	v_lshrrev_b32_e32 v3, 20, v3
	s_or_saveexec_b64 s[12:13], s[12:13]
                                        ; implicit-def: $sgpr14
	s_xor_b64 exec, exec, s[12:13]
	s_cbranch_execnz .LBB18_318
.LBB18_73:
	s_or_b64 exec, exec, s[12:13]
	v_mov_b32_e32 v5, s14
	s_and_saveexec_b64 s[12:13], s[10:11]
.LBB18_74:
	v_lshrrev_b32_e32 v5, 24, v2
	s_movk_i32 s10, 0x80
	v_and_or_b32 v5, v5, s10, v3
.LBB18_75:
	s_or_b64 exec, exec, s[12:13]
.LBB18_76:
	s_or_b64 exec, exec, s[8:9]
	global_store_byte v[0:1], v5, off
.LBB18_77:
	s_mov_b64 s[8:9], -1
.LBB18_78:
	s_mov_b64 s[10:11], 0
.LBB18_79:
	s_and_b64 vcc, exec, s[10:11]
	s_cbranch_vccz .LBB18_120
; %bb.80:
	v_mov_b32_e32 v3, 22
	v_cmp_gt_i16_sdwa s[12:13], v6, v3 src0_sel:BYTE_0 src1_sel:DWORD
	s_mov_b64 s[10:11], -1
	s_and_b64 vcc, exec, s[12:13]
	s_cbranch_vccz .LBB18_112
; %bb.81:
	v_mov_b32_e32 v3, 24
	v_cmp_lt_i16_sdwa s[10:11], v6, v3 src0_sel:BYTE_0 src1_sel:DWORD
	s_mov_b64 s[8:9], -1
	s_and_b64 vcc, exec, s[10:11]
	s_cbranch_vccnz .LBB18_101
; %bb.82:
	v_cmp_gt_i16_sdwa s[10:11], v6, v3 src0_sel:BYTE_0 src1_sel:DWORD
	s_and_b64 vcc, exec, s[10:11]
	s_cbranch_vccz .LBB18_90
; %bb.83:
	v_and_b32_e32 v3, 0x7fffffff, v2
	s_mov_b32 s8, 0x47800000
	v_cmp_gt_u32_e32 vcc, s8, v3
	v_mov_b32_e32 v5, 0x80
	s_and_saveexec_b64 s[8:9], vcc
	s_cbranch_execz .LBB18_89
; %bb.84:
	s_mov_b32 s10, 0x37ffffff
	v_cmp_lt_u32_e32 vcc, s10, v3
	s_mov_b64 s[10:11], 0
                                        ; implicit-def: $vgpr3
	s_and_saveexec_b64 s[12:13], vcc
	s_xor_b64 s[12:13], exec, s[12:13]
	s_cbranch_execz .LBB18_321
; %bb.85:
	v_bfe_u32 v3, v2, 21, 1
	s_mov_b32 s14, 0x88fffff
	v_add3_u32 v3, v2, v3, s14
	s_mov_b64 s[10:11], exec
	v_lshrrev_b32_e32 v3, 21, v3
	s_or_saveexec_b64 s[12:13], s[12:13]
                                        ; implicit-def: $sgpr14
	s_xor_b64 exec, exec, s[12:13]
	s_cbranch_execnz .LBB18_322
.LBB18_86:
	s_or_b64 exec, exec, s[12:13]
	v_mov_b32_e32 v5, s14
	s_and_saveexec_b64 s[12:13], s[10:11]
.LBB18_87:
	v_lshrrev_b32_e32 v5, 24, v2
	s_movk_i32 s10, 0x80
	v_and_or_b32 v5, v5, s10, v3
.LBB18_88:
	s_or_b64 exec, exec, s[12:13]
.LBB18_89:
	s_or_b64 exec, exec, s[8:9]
	s_mov_b64 s[8:9], 0
	global_store_byte v[0:1], v5, off
.LBB18_90:
	s_and_b64 vcc, exec, s[8:9]
	s_cbranch_vccz .LBB18_100
; %bb.91:
	v_and_b32_e32 v5, 0x7fffffff, v2
	s_mov_b32 s8, 0x43f00000
	v_cmp_gt_u32_e32 vcc, s8, v5
                                        ; implicit-def: $vgpr3
	s_and_saveexec_b64 s[8:9], vcc
	s_xor_b64 s[8:9], exec, s[8:9]
	s_cbranch_execz .LBB18_97
; %bb.92:
	s_mov_b32 s10, 0x3c7fffff
	v_cmp_lt_u32_e32 vcc, s10, v5
                                        ; implicit-def: $vgpr3
	s_and_saveexec_b64 s[10:11], vcc
	s_xor_b64 s[10:11], exec, s[10:11]
; %bb.93:
	v_bfe_u32 v3, v2, 20, 1
	s_mov_b32 s12, 0x407ffff
	v_add3_u32 v3, v2, v3, s12
	v_lshrrev_b32_e32 v5, 20, v3
	v_and_b32_e32 v3, 0xff00000, v3
	s_mov_b32 s12, 0x7f00000
	v_mov_b32_e32 v7, 0x7e
	v_cmp_ne_u32_e32 vcc, s12, v3
	v_cndmask_b32_e32 v3, v7, v5, vcc
; %bb.94:
	s_andn2_saveexec_b64 s[10:11], s[10:11]
; %bb.95:
	s_mov_b32 s12, 0x46800000
	v_add_f32_e64 v3, |v2|, s12
; %bb.96:
	s_or_b64 exec, exec, s[10:11]
                                        ; implicit-def: $vgpr5
.LBB18_97:
	s_andn2_saveexec_b64 s[8:9], s[8:9]
; %bb.98:
	s_mov_b32 s10, 0x7f800000
	v_mov_b32_e32 v3, 0x7e
	v_mov_b32_e32 v7, 0x7f
	v_cmp_lt_u32_e32 vcc, s10, v5
	v_cndmask_b32_e32 v3, v3, v7, vcc
; %bb.99:
	s_or_b64 exec, exec, s[8:9]
	v_lshrrev_b32_e32 v5, 24, v2
	s_movk_i32 s8, 0x80
	v_and_or_b32 v3, v5, s8, v3
	global_store_byte v[0:1], v3, off
.LBB18_100:
	s_mov_b64 s[8:9], 0
.LBB18_101:
	s_andn2_b64 vcc, exec, s[8:9]
	s_cbranch_vccnz .LBB18_111
; %bb.102:
	v_and_b32_e32 v5, 0x7fffffff, v2
	s_mov_b32 s8, 0x47800000
	v_cmp_gt_u32_e32 vcc, s8, v5
                                        ; implicit-def: $vgpr3
	s_and_saveexec_b64 s[8:9], vcc
	s_xor_b64 s[8:9], exec, s[8:9]
	s_cbranch_execz .LBB18_108
; %bb.103:
	s_mov_b32 s10, 0x387fffff
	v_cmp_lt_u32_e32 vcc, s10, v5
                                        ; implicit-def: $vgpr3
	s_and_saveexec_b64 s[10:11], vcc
	s_xor_b64 s[10:11], exec, s[10:11]
; %bb.104:
	v_bfe_u32 v3, v2, 21, 1
	s_mov_b32 s12, 0x80fffff
	v_add3_u32 v3, v2, v3, s12
	v_lshrrev_b32_e32 v3, 21, v3
; %bb.105:
	s_andn2_saveexec_b64 s[10:11], s[10:11]
; %bb.106:
	s_mov_b32 s12, 0x43000000
	v_add_f32_e64 v3, |v2|, s12
; %bb.107:
	s_or_b64 exec, exec, s[10:11]
                                        ; implicit-def: $vgpr5
.LBB18_108:
	s_andn2_saveexec_b64 s[8:9], s[8:9]
; %bb.109:
	s_mov_b32 s10, 0x7f800000
	v_mov_b32_e32 v3, 0x7c
	v_mov_b32_e32 v7, 0x7f
	v_cmp_lt_u32_e32 vcc, s10, v5
	v_cndmask_b32_e32 v3, v3, v7, vcc
; %bb.110:
	s_or_b64 exec, exec, s[8:9]
	v_lshrrev_b32_e32 v5, 24, v2
	s_movk_i32 s8, 0x80
	v_and_or_b32 v3, v5, s8, v3
	global_store_byte v[0:1], v3, off
.LBB18_111:
	s_mov_b64 s[10:11], 0
	s_mov_b64 s[8:9], -1
.LBB18_112:
	s_andn2_b64 vcc, exec, s[10:11]
	s_cbranch_vccnz .LBB18_120
; %bb.113:
	v_mov_b32_e32 v3, 14
	v_cmp_gt_i16_sdwa s[12:13], v6, v3 src0_sel:BYTE_0 src1_sel:DWORD
	s_mov_b64 s[10:11], -1
	s_and_b64 vcc, exec, s[12:13]
	s_cbranch_vccz .LBB18_117
; %bb.114:
	v_mov_b32_e32 v3, 15
	v_cmp_eq_u16_sdwa s[10:11], v6, v3 src0_sel:BYTE_0 src1_sel:DWORD
	s_mov_b64 s[0:1], -1
	s_and_b64 vcc, exec, s[10:11]
	s_cbranch_vccz .LBB18_116
; %bb.115:
	v_bfe_u32 v3, v2, 16, 1
	s_movk_i32 s0, 0x7fff
	v_add3_u32 v3, v2, v3, s0
	v_lshrrev_b32_e32 v3, 16, v3
	v_mov_b32_e32 v5, 0x7fc0
	v_cmp_o_f32_e32 vcc, v2, v2
	v_cndmask_b32_e32 v3, v5, v3, vcc
	global_store_short v[0:1], v3, off
	s_mov_b64 s[8:9], -1
	s_mov_b64 s[0:1], 0
.LBB18_116:
	s_mov_b64 s[10:11], 0
.LBB18_117:
	s_and_b64 vcc, exec, s[10:11]
	s_cbranch_vccz .LBB18_120
; %bb.118:
	v_mov_b32_e32 v3, 11
	v_cmp_eq_u16_sdwa s[10:11], v6, v3 src0_sel:BYTE_0 src1_sel:DWORD
	s_mov_b64 s[0:1], -1
	s_and_b64 vcc, exec, s[10:11]
	s_cbranch_vccz .LBB18_120
; %bb.119:
	v_cmp_neq_f32_e32 vcc, 0, v2
	v_cndmask_b32_e64 v3, 0, 1, vcc
	s_mov_b64 s[8:9], -1
	s_mov_b64 s[0:1], 0
	global_store_byte v[0:1], v3, off
.LBB18_120:
	s_branch .LBB18_39
.LBB18_121:
	v_mov_b32_e32 v3, 5
	v_cmp_lt_i16_sdwa s[10:11], v6, v3 src0_sel:BYTE_0 src1_sel:DWORD
	s_mov_b64 s[8:9], -1
	s_and_b64 vcc, exec, s[10:11]
	s_cbranch_vccnz .LBB18_142
; %bb.122:
	v_mov_b32_e32 v3, 8
	v_cmp_lt_i16_sdwa s[10:11], v6, v3 src0_sel:BYTE_0 src1_sel:DWORD
	s_and_b64 vcc, exec, s[10:11]
	s_cbranch_vccnz .LBB18_132
; %bb.123:
	v_mov_b32_e32 v3, 9
	v_cmp_lt_i16_sdwa s[10:11], v6, v3 src0_sel:BYTE_0 src1_sel:DWORD
	s_and_b64 vcc, exec, s[10:11]
	s_cbranch_vccnz .LBB18_129
; %bb.124:
	v_cmp_gt_i16_sdwa s[10:11], v6, v3 src0_sel:BYTE_0 src1_sel:DWORD
	s_and_b64 vcc, exec, s[10:11]
	s_cbranch_vccz .LBB18_126
; %bb.125:
	v_mov_b32_e32 v10, 0
	v_cvt_f64_f32_e32 v[8:9], v2
	v_mov_b32_e32 v11, v10
	global_store_dwordx4 v[0:1], v[8:11], off
	s_mov_b64 s[8:9], 0
.LBB18_126:
	s_andn2_b64 vcc, exec, s[8:9]
	s_cbranch_vccnz .LBB18_128
; %bb.127:
	v_mov_b32_e32 v3, 0
	global_store_dwordx2 v[0:1], v[2:3], off
.LBB18_128:
	s_mov_b64 s[8:9], 0
.LBB18_129:
	s_andn2_b64 vcc, exec, s[8:9]
	s_cbranch_vccnz .LBB18_131
; %bb.130:
	v_cvt_f16_f32_e32 v3, v2
	global_store_dword v[0:1], v3, off
.LBB18_131:
	s_mov_b64 s[8:9], 0
.LBB18_132:
	s_andn2_b64 vcc, exec, s[8:9]
	s_cbranch_vccnz .LBB18_141
; %bb.133:
	v_mov_b32_e32 v3, 6
	v_cmp_lt_i16_sdwa s[10:11], v6, v3 src0_sel:BYTE_0 src1_sel:DWORD
	s_mov_b64 s[8:9], -1
	s_and_b64 vcc, exec, s[10:11]
	s_cbranch_vccnz .LBB18_139
; %bb.134:
	v_cmp_gt_i16_sdwa s[10:11], v6, v3 src0_sel:BYTE_0 src1_sel:DWORD
	s_and_b64 vcc, exec, s[10:11]
	s_cbranch_vccz .LBB18_136
; %bb.135:
	v_cvt_f64_f32_e32 v[8:9], v2
	global_store_dwordx2 v[0:1], v[8:9], off
	s_mov_b64 s[8:9], 0
.LBB18_136:
	s_andn2_b64 vcc, exec, s[8:9]
	s_cbranch_vccnz .LBB18_138
; %bb.137:
	global_store_dword v[0:1], v2, off
.LBB18_138:
	s_mov_b64 s[8:9], 0
.LBB18_139:
	s_andn2_b64 vcc, exec, s[8:9]
	s_cbranch_vccnz .LBB18_141
; %bb.140:
	v_cvt_f16_f32_e32 v3, v2
	global_store_short v[0:1], v3, off
.LBB18_141:
	s_mov_b64 s[8:9], 0
.LBB18_142:
	s_andn2_b64 vcc, exec, s[8:9]
	s_cbranch_vccnz .LBB18_158
; %bb.143:
	v_mov_b32_e32 v3, 2
	v_cmp_lt_i16_sdwa s[10:11], v6, v3 src0_sel:BYTE_0 src1_sel:DWORD
	s_mov_b64 s[8:9], -1
	s_and_b64 vcc, exec, s[10:11]
	s_cbranch_vccnz .LBB18_153
; %bb.144:
	v_mov_b32_e32 v3, 3
	v_cmp_lt_i16_sdwa s[10:11], v6, v3 src0_sel:BYTE_0 src1_sel:DWORD
	s_and_b64 vcc, exec, s[10:11]
	s_cbranch_vccnz .LBB18_150
; %bb.145:
	v_cmp_gt_i16_sdwa s[10:11], v6, v3 src0_sel:BYTE_0 src1_sel:DWORD
	s_and_b64 vcc, exec, s[10:11]
	s_cbranch_vccz .LBB18_147
; %bb.146:
	v_trunc_f32_e32 v3, v2
	s_mov_b32 s8, 0x2f800000
	v_mul_f32_e64 v5, |v3|, s8
	v_floor_f32_e32 v5, v5
	s_mov_b32 s8, 0xcf800000
	v_cvt_u32_f32_e32 v7, v5
	v_fma_f32 v5, v5, s8, |v3|
	v_cvt_u32_f32_e32 v5, v5
	v_ashrrev_i32_e32 v3, 31, v3
	v_xor_b32_e32 v7, v7, v3
	s_mov_b64 s[8:9], 0
	v_xor_b32_e32 v5, v5, v3
	v_sub_co_u32_e32 v8, vcc, v5, v3
	v_subb_co_u32_e32 v9, vcc, v7, v3, vcc
	global_store_dwordx2 v[0:1], v[8:9], off
.LBB18_147:
	s_andn2_b64 vcc, exec, s[8:9]
	s_cbranch_vccnz .LBB18_149
; %bb.148:
	v_cvt_i32_f32_e32 v3, v2
	global_store_dword v[0:1], v3, off
.LBB18_149:
	s_mov_b64 s[8:9], 0
.LBB18_150:
	s_andn2_b64 vcc, exec, s[8:9]
	s_cbranch_vccnz .LBB18_152
; %bb.151:
	v_cvt_i32_f32_e32 v3, v2
	global_store_short v[0:1], v3, off
.LBB18_152:
	s_mov_b64 s[8:9], 0
.LBB18_153:
	s_andn2_b64 vcc, exec, s[8:9]
	s_cbranch_vccnz .LBB18_158
; %bb.154:
	v_mov_b32_e32 v3, 0
	v_cmp_gt_i16_sdwa s[10:11], v6, v3 src0_sel:BYTE_0 src1_sel:DWORD
	s_mov_b64 s[8:9], -1
	s_and_b64 vcc, exec, s[10:11]
	s_cbranch_vccz .LBB18_156
; %bb.155:
	v_cvt_i32_f32_e32 v3, v2
	s_mov_b64 s[8:9], 0
	global_store_byte v[0:1], v3, off
.LBB18_156:
	s_andn2_b64 vcc, exec, s[8:9]
	s_cbranch_vccnz .LBB18_158
; %bb.157:
	v_trunc_f32_e32 v2, v2
	s_mov_b32 s8, 0x2f800000
	v_mul_f32_e64 v3, |v2|, s8
	v_floor_f32_e32 v3, v3
	s_mov_b32 s8, 0xcf800000
	v_fma_f32 v3, v3, s8, |v2|
	v_cvt_u32_f32_e32 v3, v3
	v_ashrrev_i32_e32 v2, 31, v2
	v_xor_b32_e32 v3, v3, v2
	v_sub_u32_e32 v2, v3, v2
	global_store_byte v[0:1], v2, off
.LBB18_158:
.LBB18_159:
	v_add_u32_e32 v12, 0x80, v12
	s_mov_b64 s[8:9], -1
	s_branch .LBB18_270
.LBB18_160:
	s_mov_b64 s[2:3], -1
                                        ; implicit-def: $vgpr1
.LBB18_161:
	s_mov_b64 s[8:9], 0
.LBB18_162:
	s_and_b64 vcc, exec, s[8:9]
	s_cbranch_vccz .LBB18_166
; %bb.163:
	v_cmp_eq_u16_e32 vcc, 29, v4
	s_cbranch_vccz .LBB18_165
; %bb.164:
	global_load_dwordx2 v[8:9], v[2:3], off
	s_mov_b64 s[0:1], -1
	s_mov_b64 s[2:3], 0
	s_mov_b64 s[8:9], 0
	s_waitcnt vmcnt(0)
	v_ffbh_u32_e32 v1, v9
	v_min_u32_e32 v1, 32, v1
	v_lshlrev_b64 v[8:9], v1, v[8:9]
	v_min_u32_e32 v5, 1, v8
	v_or_b32_e32 v5, v9, v5
	v_cvt_f32_u32_e32 v5, v5
	v_sub_u32_e32 v1, 32, v1
	v_ldexp_f32 v1, v5, v1
	s_branch .LBB18_167
.LBB18_165:
	s_mov_b64 s[2:3], -1
                                        ; implicit-def: $vgpr1
.LBB18_166:
	s_mov_b64 s[8:9], 0
.LBB18_167:
	s_and_b64 vcc, exec, s[8:9]
	s_cbranch_vccz .LBB18_185
; %bb.168:
	v_cmp_gt_i16_e32 vcc, 27, v4
	s_cbranch_vccnz .LBB18_171
; %bb.169:
	v_cmp_lt_i16_e32 vcc, 27, v4
	s_cbranch_vccz .LBB18_172
; %bb.170:
	global_load_dword v1, v[2:3], off
	s_mov_b64 s[0:1], 0
	s_waitcnt vmcnt(0)
	v_cvt_f32_u32_e32 v1, v1
	s_branch .LBB18_173
.LBB18_171:
	s_mov_b64 s[0:1], -1
                                        ; implicit-def: $vgpr1
	s_branch .LBB18_176
.LBB18_172:
	s_mov_b64 s[0:1], -1
                                        ; implicit-def: $vgpr1
.LBB18_173:
	s_andn2_b64 vcc, exec, s[0:1]
	s_cbranch_vccnz .LBB18_175
; %bb.174:
	global_load_ushort v1, v[2:3], off
	s_waitcnt vmcnt(0)
	v_cvt_f32_u32_e32 v1, v1
.LBB18_175:
	s_mov_b64 s[0:1], 0
.LBB18_176:
	s_andn2_b64 vcc, exec, s[0:1]
	s_cbranch_vccnz .LBB18_184
; %bb.177:
	global_load_ubyte v5, v[2:3], off
	s_movk_i32 s0, 0x7f
                                        ; implicit-def: $sgpr12
	s_waitcnt vmcnt(0)
	v_cmp_lt_i16_e32 vcc, s0, v5
	s_mov_b64 s[0:1], 0
	s_and_saveexec_b64 s[8:9], vcc
	s_xor_b64 s[8:9], exec, s[8:9]
	s_cbranch_execz .LBB18_197
; %bb.178:
	s_movk_i32 s0, 0x80
	v_cmp_eq_u16_e32 vcc, s0, v5
	s_mov_b64 s[0:1], -1
                                        ; implicit-def: $sgpr12
	s_and_saveexec_b64 s[10:11], vcc
; %bb.179:
	s_mov_b32 s12, 0x7f800001
	s_xor_b64 s[0:1], exec, -1
; %bb.180:
	s_or_b64 exec, exec, s[10:11]
	s_and_b64 s[0:1], s[0:1], exec
	s_or_saveexec_b64 s[8:9], s[8:9]
	v_mov_b32_e32 v1, s12
	s_xor_b64 exec, exec, s[8:9]
	s_cbranch_execnz .LBB18_198
.LBB18_181:
	s_or_b64 exec, exec, s[8:9]
	s_and_saveexec_b64 s[8:9], s[0:1]
	s_cbranch_execz .LBB18_183
.LBB18_182:
	v_lshlrev_b32_e32 v1, 24, v5
	v_and_b32_e32 v5, 0xffff, v5
	v_and_b32_e32 v7, 7, v5
	v_ffbh_u32_e32 v9, v7
	v_min_u32_e32 v9, 32, v9
	v_subrev_u32_e32 v10, 28, v9
	v_bfe_u32 v8, v5, 3, 4
	v_lshlrev_b32_e32 v5, v10, v5
	v_sub_u32_e32 v9, 29, v9
	v_and_b32_e32 v5, 7, v5
	v_cmp_eq_u32_e32 vcc, 0, v8
	v_cndmask_b32_e32 v8, v8, v9, vcc
	v_cndmask_b32_e32 v5, v7, v5, vcc
	v_mov_b32_e32 v7, 0x3b800000
	v_lshlrev_b32_e32 v5, 20, v5
	v_and_b32_e32 v1, 0x80000000, v1
	v_lshl_add_u32 v7, v8, 23, v7
	v_or3_b32 v1, v1, v7, v5
.LBB18_183:
	s_or_b64 exec, exec, s[8:9]
.LBB18_184:
	s_mov_b64 s[0:1], -1
.LBB18_185:
	s_branch .LBB18_220
.LBB18_186:
	v_cmp_lt_i16_e32 vcc, 22, v4
	s_cbranch_vccz .LBB18_196
; %bb.187:
	v_cmp_gt_i16_e32 vcc, 24, v4
	s_cbranch_vccnz .LBB18_199
; %bb.188:
	v_cmp_lt_i16_e32 vcc, 24, v4
	s_cbranch_vccz .LBB18_200
; %bb.189:
	global_load_ubyte v5, v[2:3], off
	s_movk_i32 s0, 0x7f
                                        ; implicit-def: $sgpr12
	s_waitcnt vmcnt(0)
	v_cmp_lt_i16_e32 vcc, s0, v5
	s_mov_b64 s[0:1], 0
	s_and_saveexec_b64 s[8:9], vcc
	s_xor_b64 s[8:9], exec, s[8:9]
	s_cbranch_execz .LBB18_212
; %bb.190:
	s_movk_i32 s0, 0x80
	v_cmp_eq_u16_e32 vcc, s0, v5
	s_mov_b64 s[0:1], -1
                                        ; implicit-def: $sgpr12
	s_and_saveexec_b64 s[10:11], vcc
; %bb.191:
	s_mov_b32 s12, 0x7f800001
	s_xor_b64 s[0:1], exec, -1
; %bb.192:
	s_or_b64 exec, exec, s[10:11]
	s_and_b64 s[0:1], s[0:1], exec
	s_or_saveexec_b64 s[8:9], s[8:9]
	v_mov_b32_e32 v1, s12
	s_xor_b64 exec, exec, s[8:9]
	s_cbranch_execnz .LBB18_213
.LBB18_193:
	s_or_b64 exec, exec, s[8:9]
	s_and_saveexec_b64 s[8:9], s[0:1]
	s_cbranch_execz .LBB18_195
.LBB18_194:
	v_lshlrev_b32_e32 v1, 24, v5
	v_and_b32_e32 v5, 0xffff, v5
	v_and_b32_e32 v7, 3, v5
	v_ffbh_u32_e32 v9, v7
	v_min_u32_e32 v9, 32, v9
	v_subrev_u32_e32 v10, 29, v9
	v_bfe_u32 v8, v5, 2, 5
	v_lshlrev_b32_e32 v5, v10, v5
	v_sub_u32_e32 v9, 30, v9
	v_and_b32_e32 v5, 3, v5
	v_cmp_eq_u32_e32 vcc, 0, v8
	v_cndmask_b32_e32 v8, v8, v9, vcc
	v_cndmask_b32_e32 v5, v7, v5, vcc
	v_mov_b32_e32 v7, 0x37800000
	v_lshlrev_b32_e32 v5, 21, v5
	v_and_b32_e32 v1, 0x80000000, v1
	v_lshl_add_u32 v7, v8, 23, v7
	v_or3_b32 v1, v1, v7, v5
.LBB18_195:
	s_or_b64 exec, exec, s[8:9]
	s_mov_b64 s[0:1], 0
	s_branch .LBB18_201
.LBB18_196:
	s_mov_b64 s[8:9], -1
                                        ; implicit-def: $vgpr1
	s_branch .LBB18_207
.LBB18_197:
	s_or_saveexec_b64 s[8:9], s[8:9]
	v_mov_b32_e32 v1, s12
	s_xor_b64 exec, exec, s[8:9]
	s_cbranch_execz .LBB18_181
.LBB18_198:
	v_cmp_ne_u16_e32 vcc, 0, v5
	s_andn2_b64 s[0:1], s[0:1], exec
	s_and_b64 s[10:11], vcc, exec
	v_mov_b32_e32 v1, 0
	s_or_b64 s[0:1], s[0:1], s[10:11]
	s_or_b64 exec, exec, s[8:9]
	s_and_saveexec_b64 s[8:9], s[0:1]
	s_cbranch_execnz .LBB18_182
	s_branch .LBB18_183
.LBB18_199:
	s_mov_b64 s[0:1], -1
                                        ; implicit-def: $vgpr1
	s_branch .LBB18_204
.LBB18_200:
	s_mov_b64 s[0:1], -1
                                        ; implicit-def: $vgpr1
.LBB18_201:
	s_and_b64 vcc, exec, s[0:1]
	s_cbranch_vccz .LBB18_203
; %bb.202:
	global_load_ubyte v1, v[2:3], off
	s_mov_b32 s0, 0x7f800000
	s_waitcnt vmcnt(0)
	v_lshlrev_b32_e32 v1, 24, v1
	v_and_b32_e32 v5, 0x7f000000, v1
	v_ffbh_u32_e32 v7, v5
	v_min_u32_e32 v7, 32, v7
	v_sub_u32_e64 v7, v7, 4 clamp
	v_lshlrev_b32_e32 v9, v7, v5
	v_lshlrev_b32_e32 v7, 23, v7
	v_lshrrev_b32_e32 v9, 4, v9
	v_add_u32_e32 v8, 0x1000000, v5
	v_sub_u32_e32 v7, v9, v7
	v_ashrrev_i32_e32 v8, 8, v8
	v_add_u32_e32 v7, 0x3c000000, v7
	v_and_or_b32 v7, v8, s0, v7
	v_cmp_ne_u32_e32 vcc, 0, v5
	v_cndmask_b32_e32 v5, 0, v7, vcc
	s_brev_b32 s0, 1
	v_and_or_b32 v1, v1, s0, v5
.LBB18_203:
	s_mov_b64 s[0:1], 0
.LBB18_204:
	s_andn2_b64 vcc, exec, s[0:1]
	s_cbranch_vccnz .LBB18_206
; %bb.205:
	global_load_ubyte v1, v[2:3], off
	s_movk_i32 s0, 0x7f00
	s_brev_b32 s1, 16
	s_waitcnt vmcnt(0)
	v_lshlrev_b16_e32 v5, 8, v1
	v_lshlrev_b32_e32 v1, 25, v1
	v_lshrrev_b32_e32 v7, 4, v1
	v_and_or_b32 v8, v5, s0, 0.5
	v_or_b32_e32 v7, 0x70000000, v7
	v_add_f32_e32 v8, -0.5, v8
	v_mul_f32_e32 v7, 0x7800000, v7
	v_cmp_gt_u32_e32 vcc, s1, v1
	v_bfe_i32 v5, v5, 0, 16
	v_cndmask_b32_e32 v1, v7, v8, vcc
	s_brev_b32 s0, 1
	v_and_or_b32 v1, v5, s0, v1
.LBB18_206:
	s_mov_b64 s[8:9], 0
	s_mov_b64 s[0:1], -1
.LBB18_207:
	s_andn2_b64 vcc, exec, s[8:9]
	s_cbranch_vccnz .LBB18_220
; %bb.208:
	v_cmp_lt_i16_e32 vcc, 14, v4
	s_cbranch_vccz .LBB18_211
; %bb.209:
	v_cmp_eq_u16_e32 vcc, 15, v4
	s_cbranch_vccz .LBB18_214
; %bb.210:
	global_load_ushort v1, v[2:3], off
	s_mov_b64 s[0:1], -1
	s_mov_b64 s[2:3], 0
	s_waitcnt vmcnt(0)
	v_lshlrev_b32_e32 v1, 16, v1
	s_branch .LBB18_215
.LBB18_211:
	s_mov_b64 s[8:9], -1
                                        ; implicit-def: $vgpr1
	s_branch .LBB18_216
.LBB18_212:
	s_or_saveexec_b64 s[8:9], s[8:9]
	v_mov_b32_e32 v1, s12
	s_xor_b64 exec, exec, s[8:9]
	s_cbranch_execz .LBB18_193
.LBB18_213:
	v_cmp_ne_u16_e32 vcc, 0, v5
	s_andn2_b64 s[0:1], s[0:1], exec
	s_and_b64 s[10:11], vcc, exec
	v_mov_b32_e32 v1, 0
	s_or_b64 s[0:1], s[0:1], s[10:11]
	s_or_b64 exec, exec, s[8:9]
	s_and_saveexec_b64 s[8:9], s[0:1]
	s_cbranch_execnz .LBB18_194
	s_branch .LBB18_195
.LBB18_214:
	s_mov_b64 s[2:3], -1
                                        ; implicit-def: $vgpr1
.LBB18_215:
	s_mov_b64 s[8:9], 0
.LBB18_216:
	s_and_b64 vcc, exec, s[8:9]
	s_cbranch_vccz .LBB18_220
; %bb.217:
	v_cmp_eq_u16_e32 vcc, 11, v4
	s_cbranch_vccz .LBB18_219
; %bb.218:
	global_load_ubyte v1, v[2:3], off
	s_mov_b64 s[0:1], -1
	s_mov_b64 s[2:3], 0
	s_waitcnt vmcnt(0)
	v_cmp_ne_u16_e32 vcc, 0, v1
	v_cndmask_b32_e64 v1, 0, 1.0, vcc
	s_branch .LBB18_220
.LBB18_219:
	s_mov_b64 s[2:3], -1
                                        ; implicit-def: $vgpr1
.LBB18_220:
	s_branch .LBB18_25
.LBB18_221:
	v_cmp_gt_i16_e32 vcc, 5, v4
	s_cbranch_vccnz .LBB18_226
; %bb.222:
	v_cmp_gt_i16_e32 vcc, 8, v4
	s_cbranch_vccnz .LBB18_227
; %bb.223:
	;; [unrolled: 3-line block ×3, first 2 shown]
	v_cmp_lt_i16_e32 vcc, 9, v4
	s_cbranch_vccz .LBB18_229
; %bb.225:
	global_load_dwordx2 v[8:9], v[2:3], off
	s_mov_b64 s[0:1], 0
	s_waitcnt vmcnt(0)
	v_cvt_f32_f64_e32 v1, v[8:9]
	s_branch .LBB18_230
.LBB18_226:
                                        ; implicit-def: $vgpr1
	s_branch .LBB18_248
.LBB18_227:
	s_mov_b64 s[0:1], -1
                                        ; implicit-def: $vgpr1
	s_branch .LBB18_236
.LBB18_228:
	s_mov_b64 s[0:1], -1
                                        ; implicit-def: $vgpr1
	s_branch .LBB18_233
.LBB18_229:
	s_mov_b64 s[0:1], -1
                                        ; implicit-def: $vgpr1
.LBB18_230:
	s_andn2_b64 vcc, exec, s[0:1]
	s_cbranch_vccnz .LBB18_232
; %bb.231:
	global_load_dword v1, v[2:3], off
.LBB18_232:
	s_mov_b64 s[0:1], 0
.LBB18_233:
	s_andn2_b64 vcc, exec, s[0:1]
	s_cbranch_vccnz .LBB18_235
; %bb.234:
	global_load_dword v1, v[2:3], off
	s_waitcnt vmcnt(0)
	v_cvt_f32_f16_e32 v1, v1
.LBB18_235:
	s_mov_b64 s[0:1], 0
.LBB18_236:
	s_andn2_b64 vcc, exec, s[0:1]
	s_cbranch_vccnz .LBB18_247
; %bb.237:
	v_cmp_gt_i16_e32 vcc, 6, v4
	s_cbranch_vccnz .LBB18_240
; %bb.238:
	v_cmp_lt_i16_e32 vcc, 6, v4
	s_cbranch_vccz .LBB18_241
; %bb.239:
	global_load_dwordx2 v[8:9], v[2:3], off
	s_mov_b64 s[0:1], 0
	s_waitcnt vmcnt(0)
	v_cvt_f32_f64_e32 v1, v[8:9]
	s_branch .LBB18_242
.LBB18_240:
	s_mov_b64 s[0:1], -1
                                        ; implicit-def: $vgpr1
	s_branch .LBB18_245
.LBB18_241:
	s_mov_b64 s[0:1], -1
                                        ; implicit-def: $vgpr1
.LBB18_242:
	s_andn2_b64 vcc, exec, s[0:1]
	s_cbranch_vccnz .LBB18_244
; %bb.243:
	global_load_dword v1, v[2:3], off
.LBB18_244:
	s_mov_b64 s[0:1], 0
.LBB18_245:
	s_andn2_b64 vcc, exec, s[0:1]
	s_cbranch_vccnz .LBB18_247
; %bb.246:
	global_load_ushort v1, v[2:3], off
	s_waitcnt vmcnt(0)
	v_cvt_f32_f16_e32 v1, v1
.LBB18_247:
	s_cbranch_execnz .LBB18_267
.LBB18_248:
	v_cmp_gt_i16_e32 vcc, 2, v4
	s_cbranch_vccnz .LBB18_252
; %bb.249:
	v_cmp_gt_i16_e32 vcc, 3, v4
	s_cbranch_vccnz .LBB18_253
; %bb.250:
	v_cmp_lt_i16_e32 vcc, 3, v4
	s_cbranch_vccz .LBB18_254
; %bb.251:
	global_load_dwordx2 v[8:9], v[2:3], off
	s_mov_b64 s[0:1], 0
	s_waitcnt vmcnt(0)
	v_xor_b32_e32 v5, v8, v9
	v_ffbh_i32_e32 v1, v9
	v_ashrrev_i32_e32 v5, 31, v5
	v_add_u32_e32 v1, -1, v1
	v_add_u32_e32 v5, 32, v5
	v_min_u32_e32 v1, v1, v5
	v_lshlrev_b64 v[8:9], v1, v[8:9]
	v_min_u32_e32 v5, 1, v8
	v_or_b32_e32 v5, v9, v5
	v_cvt_f32_i32_e32 v5, v5
	v_sub_u32_e32 v1, 32, v1
	v_ldexp_f32 v1, v5, v1
	s_branch .LBB18_255
.LBB18_252:
	s_mov_b64 s[0:1], -1
                                        ; implicit-def: $vgpr1
	s_branch .LBB18_261
.LBB18_253:
	s_mov_b64 s[0:1], -1
                                        ; implicit-def: $vgpr1
	s_branch .LBB18_258
.LBB18_254:
	s_mov_b64 s[0:1], -1
                                        ; implicit-def: $vgpr1
.LBB18_255:
	s_andn2_b64 vcc, exec, s[0:1]
	s_cbranch_vccnz .LBB18_257
; %bb.256:
	global_load_dword v1, v[2:3], off
	s_waitcnt vmcnt(0)
	v_cvt_f32_i32_e32 v1, v1
.LBB18_257:
	s_mov_b64 s[0:1], 0
.LBB18_258:
	s_andn2_b64 vcc, exec, s[0:1]
	s_cbranch_vccnz .LBB18_260
; %bb.259:
	global_load_sshort v1, v[2:3], off
	s_waitcnt vmcnt(0)
	v_cvt_f32_i32_e32 v1, v1
.LBB18_260:
	s_mov_b64 s[0:1], 0
.LBB18_261:
	s_andn2_b64 vcc, exec, s[0:1]
	s_cbranch_vccnz .LBB18_267
; %bb.262:
	v_cmp_lt_i16_e32 vcc, 0, v4
	s_cbranch_vccz .LBB18_264
; %bb.263:
	global_load_sbyte v1, v[2:3], off
	s_mov_b64 s[0:1], 0
	s_waitcnt vmcnt(0)
	v_cvt_f32_i32_e32 v1, v1
	s_branch .LBB18_265
.LBB18_264:
	s_mov_b64 s[0:1], -1
                                        ; implicit-def: $vgpr1
.LBB18_265:
	s_andn2_b64 vcc, exec, s[0:1]
	s_cbranch_vccnz .LBB18_267
; %bb.266:
	global_load_ubyte v1, v[2:3], off
	s_waitcnt vmcnt(0)
	v_cvt_f32_ubyte0_e32 v1, v1
.LBB18_267:
	s_branch .LBB18_26
.LBB18_268:
	s_mov_b64 s[0:1], 0
.LBB18_269:
	s_mov_b64 s[8:9], 0
                                        ; implicit-def: $vgpr12
.LBB18_270:
	s_and_b64 s[52:53], s[0:1], exec
	s_and_b64 s[54:55], s[2:3], exec
	s_orn2_b64 s[2:3], s[8:9], exec
.LBB18_271:
	s_or_b64 exec, exec, s[56:57]
	s_mov_b64 s[10:11], 0
	s_mov_b64 s[0:1], 0
                                        ; implicit-def: $vgpr2_vgpr3
                                        ; implicit-def: $vgpr0
                                        ; implicit-def: $vgpr7
	s_and_saveexec_b64 s[56:57], s[2:3]
	s_cbranch_execz .LBB18_279
; %bb.272:
	v_cmp_gt_i32_e32 vcc, s72, v12
	s_mov_b64 s[0:1], -1
	s_mov_b64 s[58:59], s[54:55]
	s_mov_b64 s[60:61], s[52:53]
	s_and_saveexec_b64 s[62:63], vcc
	s_cbranch_execz .LBB18_552
; %bb.273:
	s_andn2_b64 vcc, exec, s[40:41]
	s_cbranch_vccnz .LBB18_282
; %bb.274:
	s_mov_b32 s58, 0
	s_andn2_b64 vcc, exec, s[50:51]
	v_mov_b32_e32 v2, 0
	v_mov_b32_e32 v0, 0
	s_cbranch_vccnz .LBB18_288
; %bb.275:
	s_add_i32 s66, s73, 1
	s_cmp_eq_u32 s74, 2
	s_cbranch_scc1 .LBB18_283
; %bb.276:
	s_and_b32 s58, s66, 28
	s_mov_b32 s59, 0
	v_mov_b32_e32 v0, 0
	s_mov_b64 s[60:61], s[34:35]
	s_mov_b64 s[64:65], s[48:49]
	v_mov_b32_e32 v3, v12
	v_mov_b32_e32 v2, 0
.LBB18_277:                             ; =>This Inner Loop Header: Depth=1
	s_load_dwordx8 s[16:23], s[60:61], 0x4
	s_load_dwordx4 s[0:3], s[60:61], 0x24
	s_load_dwordx8 s[8:15], s[64:65], 0x0
	s_add_u32 s60, s60, 48
	s_addc_u32 s61, s61, 0
	s_waitcnt vmcnt(0) lgkmcnt(0)
	v_mul_hi_u32 v1, s17, v3
	v_add_u32_e32 v1, v3, v1
	v_lshrrev_b32_e32 v1, s18, v1
	v_mul_lo_u32 v5, v1, s16
	v_mul_hi_u32 v7, s20, v1
	v_sub_u32_e32 v3, v3, v5
	v_add_u32_e32 v5, v1, v7
	v_lshrrev_b32_e32 v5, s21, v5
	v_mul_lo_u32 v8, v5, s19
	v_mul_hi_u32 v9, s23, v5
	v_sub_u32_e32 v1, v1, v8
	v_add_u32_e32 v8, v5, v9
	v_mul_lo_u32 v7, v3, s9
	v_mul_lo_u32 v3, v3, s8
	;; [unrolled: 1-line block ×4, first 2 shown]
	v_lshrrev_b32_e32 v8, s0, v8
	v_add3_u32 v0, v3, v0, v1
	v_mul_hi_u32 v3, s2, v8
	v_add_u32_e32 v3, v8, v3
	v_lshrrev_b32_e32 v3, s3, v3
	s_add_i32 s59, s59, 4
	v_add3_u32 v1, v7, v2, v9
	v_mul_lo_u32 v2, v8, s22
	v_mul_lo_u32 v7, v3, s1
	s_add_u32 s64, s64, 32
	v_sub_u32_e32 v2, v5, v2
	v_sub_u32_e32 v7, v8, v7
	s_addc_u32 s65, s65, 0
	v_mul_lo_u32 v5, v2, s12
	v_mul_lo_u32 v2, v2, s13
	;; [unrolled: 1-line block ×4, first 2 shown]
	s_cmp_eq_u32 s58, s59
	v_add3_u32 v2, v2, v1, v7
	v_add3_u32 v0, v5, v0, v8
	s_cbranch_scc0 .LBB18_277
; %bb.278:
	v_mov_b32_e32 v1, v2
	s_branch .LBB18_284
.LBB18_279:
	s_or_b64 exec, exec, s[56:57]
	s_mov_b64 s[2:3], 0
	s_and_saveexec_b64 s[8:9], s[54:55]
	s_cbranch_execnz .LBB18_934
.LBB18_280:
	s_or_b64 exec, exec, s[8:9]
	s_and_saveexec_b64 s[8:9], s[60:61]
	s_xor_b64 s[8:9], exec, s[8:9]
	s_cbranch_execz .LBB18_935
.LBB18_281:
	global_load_ubyte v1, v[2:3], off
	s_or_b64 s[0:1], s[0:1], exec
	s_waitcnt vmcnt(0)
	v_cmp_ne_u16_e32 vcc, 0, v1
	v_cndmask_b32_e64 v7, 0, 1.0, vcc
	s_or_b64 exec, exec, s[8:9]
	s_and_saveexec_b64 s[8:9], s[10:11]
	s_cbranch_execz .LBB18_981
	s_branch .LBB18_936
.LBB18_282:
                                        ; implicit-def: $vgpr2
                                        ; implicit-def: $vgpr0
	s_andn2_b64 vcc, exec, s[0:1]
	s_cbranch_vccz .LBB18_289
	s_branch .LBB18_291
.LBB18_283:
	s_mov_b32 s59, s58
	s_waitcnt vmcnt(0)
	v_pk_mov_b32 v[0:1], s[58:59], s[58:59] op_sel:[0,1]
                                        ; implicit-def: $vgpr2
	v_mov_b32_e32 v3, v12
.LBB18_284:
	s_and_b32 s8, s66, 3
	s_cmp_eq_u32 s8, 0
	s_cbranch_scc1 .LBB18_288
; %bb.285:
	s_lshl_b32 s0, s58, 3
	s_add_u32 s0, s0, s34
	s_addc_u32 s1, s35, 0
	s_add_u32 s0, s0, 0xc4
	s_addc_u32 s1, s1, 0
	s_mul_i32 s2, s58, 12
	s_add_u32 s2, s34, s2
	s_addc_u32 s3, s35, 0
.LBB18_286:                             ; =>This Inner Loop Header: Depth=1
	s_load_dwordx2 s[10:11], s[2:3], 0x4
	s_load_dword s9, s[2:3], 0xc
	s_load_dwordx2 s[12:13], s[0:1], 0x0
	v_mov_b32_e32 v2, v1
	s_add_u32 s2, s2, 12
	s_waitcnt lgkmcnt(0)
	v_mul_hi_u32 v1, s11, v3
	v_add_u32_e32 v1, v3, v1
	v_lshrrev_b32_e32 v1, s9, v1
	s_addc_u32 s3, s3, 0
	v_mul_lo_u32 v5, v1, s10
	s_add_u32 s0, s0, 8
	v_sub_u32_e32 v5, v3, v5
	v_mov_b32_e32 v3, v1
	s_addc_u32 s1, s1, 0
	s_add_i32 s8, s8, -1
	v_mad_u64_u32 v[8:9], s[10:11], v5, s13, v[2:3]
	v_mad_u64_u32 v[0:1], s[10:11], v5, s12, v[0:1]
	s_cmp_lg_u32 s8, 0
	v_mov_b32_e32 v1, v8
	s_cbranch_scc1 .LBB18_286
; %bb.287:
	v_mov_b32_e32 v2, v1
.LBB18_288:
	s_cbranch_execnz .LBB18_291
.LBB18_289:
	s_waitcnt lgkmcnt(0)
	v_mul_hi_u32 v0, s37, v12
	v_add_u32_e32 v0, v12, v0
	s_waitcnt vmcnt(0)
	v_lshrrev_b32_e32 v1, s38, v0
	v_mul_lo_u32 v0, v1, s36
	v_sub_u32_e32 v0, v12, v0
	v_mul_lo_u32 v2, v0, s29
	s_andn2_b64 vcc, exec, s[46:47]
	v_mul_lo_u32 v0, v0, s28
	s_cbranch_vccnz .LBB18_291
; %bb.290:
	v_mul_hi_u32 v3, s44, v1
	v_add_u32_e32 v3, v1, v3
	v_lshrrev_b32_e32 v3, s45, v3
	v_mul_lo_u32 v3, v3, s39
	v_sub_u32_e32 v3, v1, v3
	v_mad_u64_u32 v[0:1], s[0:1], v3, s30, v[0:1]
	v_mad_u64_u32 v[2:3], s[0:1], v3, s31, v[2:3]
.LBB18_291:
	s_waitcnt vmcnt(0) lgkmcnt(0)
	v_mov_b32_e32 v1, s27
	v_add_co_u32_e32 v2, vcc, s26, v2
	v_addc_co_u32_e32 v3, vcc, 0, v1, vcc
	v_cmp_gt_i16_e32 vcc, 11, v4
	s_cbranch_vccnz .LBB18_298
; %bb.292:
	v_cmp_lt_i16_e32 vcc, 25, v4
	s_cbranch_vccz .LBB18_311
; %bb.293:
	v_cmp_lt_i16_e32 vcc, 28, v4
	s_cbranch_vccz .LBB18_313
	;; [unrolled: 3-line block ×4, first 2 shown]
; %bb.296:
	v_cmp_eq_u16_e32 vcc, 46, v4
	s_mov_b64 s[8:9], 0
	s_cbranch_vccz .LBB18_323
; %bb.297:
	global_load_dword v1, v[2:3], off
	s_mov_b64 s[0:1], -1
	s_mov_b64 s[2:3], 0
	s_waitcnt vmcnt(0)
	v_lshlrev_b32_e32 v1, 16, v1
	s_branch .LBB18_324
.LBB18_298:
	s_mov_b64 s[0:1], 0
                                        ; implicit-def: $vgpr1
	s_mov_b64 s[2:3], s[54:55]
	s_cbranch_execnz .LBB18_501
.LBB18_299:
	s_andn2_b64 vcc, exec, s[0:1]
	s_cbranch_vccnz .LBB18_549
.LBB18_300:
	s_mov_b32 s0, 0x41000000
	s_waitcnt vmcnt(0)
	v_cmp_le_f32_e64 s[0:1], |v1|, s0
                                        ; implicit-def: $vgpr2
	s_and_saveexec_b64 s[8:9], s[0:1]
	s_xor_b64 s[0:1], exec, s[8:9]
	s_cbranch_execz .LBB18_302
; %bb.301:
	v_fma_f32 v2, |v1|, 0.5, -2.0
	v_mov_b32_e32 v3, 0x24199b15
	v_fmac_f32_e32 v3, 0xa2a2e5b9, v2
	v_mov_b32_e32 v5, 0x22a2e5b9
	v_fmac_f32_e32 v5, v2, v3
	v_add_f32_e32 v5, 0xa58c275c, v5
	v_fma_f32 v3, v2, v5, -v3
	v_add_f32_e32 v3, 0x26f736c5, v3
	v_fma_f32 v5, v2, v3, -v5
	;; [unrolled: 2-line block ×22, first 2 shown]
	v_add_f32_e32 v5, 0xbcc274f8, v5
	s_mov_b32 s8, 0x3fb8aa3b
	v_fma_f32 v3, v2, v5, -v3
	v_mul_f32_e64 v7, |v1|, s8
	v_add_f32_e32 v3, 0x3d49f456, v3
	v_rndne_f32_e32 v8, v7
	v_fma_f32 v5, v2, v3, -v5
	v_sub_f32_e32 v9, v7, v8
	v_fma_f32 v7, |v1|, s8, -v7
	s_mov_b32 s8, 0x32a5705f
	v_add_f32_e32 v5, 0xbdc25b82, v5
	v_fma_f32 v7, |v1|, s8, v7
	v_fma_f32 v3, v2, v5, -v3
	v_add_f32_e32 v7, v9, v7
	v_add_f32_e32 v3, 0x3e2fbd64, v3
	v_exp_f32_e32 v7, v7
	v_cvt_i32_f32_e32 v8, v8
	v_fma_f32 v5, v2, v3, -v5
	v_add_f32_e32 v5, 0xbe9bff5e, v5
	v_fma_f32 v2, v2, v5, -v3
	s_mov_b32 s8, 0xc2ce8ed0
	v_add_f32_e32 v2, 0x3f2d4275, v2
	v_ldexp_f32 v5, v7, v8
	v_cmp_nlt_f32_e64 vcc, |v1|, s8
	s_mov_b32 s8, 0x42b17218
	v_cndmask_b32_e32 v5, 0, v5, vcc
	v_mov_b32_e32 v7, 0x7f800000
	v_cmp_ngt_f32_e64 vcc, |v1|, s8
	v_sub_f32_e32 v2, v2, v3
	v_cndmask_b32_e32 v1, v7, v5, vcc
	v_mul_f32_e32 v2, 0.5, v2
	v_mul_f32_e32 v2, v1, v2
                                        ; implicit-def: $vgpr1
.LBB18_302:
	s_andn2_saveexec_b64 s[8:9], s[0:1]
	s_cbranch_execz .LBB18_304
; %bb.303:
	v_and_b32_e32 v2, 0x7fffffff, v1
	s_mov_b32 s10, 0x42000000
	v_div_scale_f32 v3, s[0:1], v2, v2, s10
	v_rcp_f32_e32 v5, v3
	v_div_scale_f32 v2, vcc, s10, v2, s10
	s_mov_b32 s0, 0x3fb8aa3b
	v_fma_f32 v7, -v3, v5, 1.0
	v_fmac_f32_e32 v5, v7, v5
	v_mul_f32_e32 v7, v2, v5
	v_fma_f32 v8, -v3, v7, v2
	v_fmac_f32_e32 v7, v8, v5
	v_fma_f32 v2, -v3, v7, v2
	v_div_fmas_f32 v2, v2, v5, v7
	v_div_fixup_f32 v2, v2, |v1|, s10
	v_add_f32_e32 v2, -2.0, v2
	v_mov_b32_e32 v3, 0xa2b236d3
	v_fmac_f32_e32 v3, 0xa3056dbb, v2
	v_mov_b32_e32 v5, 0x23056dbb
	v_fmac_f32_e32 v5, v2, v3
	v_add_f32_e32 v5, 0x244df0c1, v5
	v_fma_f32 v3, v2, v5, -v3
	v_add_f32_e32 v3, 0x241f9ee8, v3
	v_fma_f32 v5, v2, v3, -v5
	;; [unrolled: 2-line block ×17, first 2 shown]
	v_add_f32_e32 v3, 0x32c2b494, v3
	v_mul_f32_e64 v7, |v1|, s0
	v_fma_f32 v5, v2, v3, -v5
	v_rndne_f32_e32 v8, v7
	v_add_f32_e32 v5, 0x345c003f, v5
	v_sub_f32_e32 v9, v7, v8
	v_fma_f32 v7, |v1|, s0, -v7
	s_mov_b32 s0, 0x32a5705f
	v_fma_f32 v3, v2, v5, -v3
	v_fma_f32 v7, |v1|, s0, v7
	v_add_f32_e32 v3, 0x3642095e, v3
	v_add_f32_e32 v7, v9, v7
	v_fma_f32 v5, v2, v3, -v5
	v_exp_f32_e32 v7, v7
	v_cvt_i32_f32_e32 v8, v8
	v_add_f32_e32 v5, 0x38907d1c, v5
	v_fma_f32 v3, v2, v5, -v3
	v_add_f32_e32 v3, 0x3b5ccc65, v3
	s_mov_b32 s0, 0xc2ce8ed0
	v_fma_f32 v2, v2, v3, -v5
	v_ldexp_f32 v3, v7, v8
	v_cmp_nlt_f32_e64 vcc, |v1|, s0
	s_mov_b32 s0, 0x42b17218
	v_cndmask_b32_e32 v3, 0, v3, vcc
	v_mov_b32_e32 v7, 0x7f800000
	v_cmp_ngt_f32_e64 vcc, |v1|, s0
	s_mov_b32 s0, 0xf800000
	s_mov_b32 s1, 0x4f800000
	v_cndmask_b32_e32 v3, v7, v3, vcc
	v_mul_f32_e64 v7, |v1|, s1
	v_cmp_lt_f32_e64 vcc, |v1|, s0
	v_cndmask_b32_e64 v1, |v1|, v7, vcc
	v_sqrt_f32_e32 v7, v1
	v_add_f32_e32 v2, 0x3f4df315, v2
	v_sub_f32_e32 v2, v2, v5
	v_mul_f32_e32 v2, 0.5, v2
	v_mul_f32_e32 v2, v3, v2
	v_add_u32_e32 v3, -1, v7
	v_fma_f32 v5, -v3, v7, v1
	v_cmp_ge_f32_e64 s[0:1], 0, v5
	v_add_u32_e32 v5, 1, v7
	v_cndmask_b32_e64 v3, v7, v3, s[0:1]
	v_fma_f32 v7, -v5, v7, v1
	v_cmp_lt_f32_e64 s[0:1], 0, v7
	v_cndmask_b32_e64 v3, v3, v5, s[0:1]
	v_mul_f32_e32 v5, 0x37800000, v3
	v_cndmask_b32_e32 v3, v3, v5, vcc
	v_mov_b32_e32 v5, 0x260
	v_cmp_class_f32_e32 vcc, v1, v5
	v_cndmask_b32_e32 v1, v3, v1, vcc
	v_div_scale_f32 v3, s[0:1], v1, v1, v2
	v_rcp_f32_e32 v5, v3
	v_fma_f32 v7, -v3, v5, 1.0
	v_fmac_f32_e32 v5, v7, v5
	v_div_scale_f32 v7, vcc, v2, v1, v2
	v_mul_f32_e32 v8, v7, v5
	v_fma_f32 v9, -v3, v8, v7
	v_fmac_f32_e32 v8, v9, v5
	v_fma_f32 v3, -v3, v8, v7
	v_div_fmas_f32 v3, v3, v5, v8
	v_div_fixup_f32 v2, v3, v1, v2
.LBB18_304:
	s_or_b64 exec, exec, s[8:9]
	v_mov_b32_e32 v1, s25
	v_add_co_u32_e32 v0, vcc, s24, v0
	v_mov_b32_e32 v3, 11
	v_addc_co_u32_e32 v1, vcc, 0, v1, vcc
	v_cmp_lt_i16_sdwa s[0:1], v6, v3 src0_sel:BYTE_0 src1_sel:DWORD
	s_and_b64 vcc, exec, s[0:1]
	s_cbranch_vccnz .LBB18_312
; %bb.305:
	v_mov_b32_e32 v3, 25
	v_cmp_gt_i16_sdwa s[0:1], v6, v3 src0_sel:BYTE_0 src1_sel:DWORD
	s_and_b64 vcc, exec, s[0:1]
	s_cbranch_vccz .LBB18_314
; %bb.306:
	v_mov_b32_e32 v3, 28
	v_cmp_gt_i16_sdwa s[0:1], v6, v3 src0_sel:BYTE_0 src1_sel:DWORD
	s_and_b64 vcc, exec, s[0:1]
	s_cbranch_vccz .LBB18_316
	;; [unrolled: 5-line block ×4, first 2 shown]
; %bb.309:
	v_mov_b32_e32 v3, 46
	v_cmp_eq_u16_sdwa s[8:9], v6, v3 src0_sel:BYTE_0 src1_sel:DWORD
	s_mov_b64 s[10:11], 0
	s_mov_b64 s[0:1], -1
	s_and_b64 vcc, exec, s[8:9]
	s_mov_b64 s[8:9], 0
	s_cbranch_vccz .LBB18_328
; %bb.310:
	v_bfe_u32 v3, v2, 16, 1
	s_movk_i32 s0, 0x7fff
	v_add3_u32 v3, v2, v3, s0
	v_lshrrev_b32_e32 v3, 16, v3
	v_mov_b32_e32 v5, 0x7fc0
	v_cmp_o_f32_e32 vcc, v2, v2
	v_cndmask_b32_e32 v3, v5, v3, vcc
	global_store_dword v[0:1], v3, off
	s_mov_b64 s[8:9], -1
	s_mov_b64 s[0:1], 0
	s_branch .LBB18_328
.LBB18_311:
	s_mov_b64 s[8:9], -1
	s_mov_b64 s[0:1], 0
	s_mov_b64 s[2:3], s[54:55]
                                        ; implicit-def: $vgpr1
	s_branch .LBB18_465
.LBB18_312:
	s_mov_b64 s[10:11], -1
	s_mov_b64 s[8:9], 0
	s_mov_b64 s[0:1], s[52:53]
	s_branch .LBB18_397
.LBB18_313:
	s_mov_b64 s[8:9], -1
	s_mov_b64 s[0:1], 0
	s_mov_b64 s[2:3], s[54:55]
                                        ; implicit-def: $vgpr1
	s_branch .LBB18_446
.LBB18_314:
	s_mov_b64 s[10:11], -1
	s_mov_b64 s[8:9], 0
	s_mov_b64 s[0:1], s[52:53]
	s_branch .LBB18_355
.LBB18_315:
	s_mov_b64 s[8:9], -1
	s_mov_b64 s[0:1], 0
	s_mov_b64 s[2:3], s[54:55]
                                        ; implicit-def: $vgpr1
	s_branch .LBB18_441
.LBB18_316:
	s_mov_b64 s[10:11], -1
	s_mov_b64 s[8:9], 0
	s_mov_b64 s[0:1], s[52:53]
	s_branch .LBB18_338
.LBB18_317:
	s_or_saveexec_b64 s[12:13], s[12:13]
                                        ; implicit-def: $sgpr14
	s_xor_b64 exec, exec, s[12:13]
	s_cbranch_execz .LBB18_73
.LBB18_318:
	s_mov_b32 s14, 0x46000000
	v_add_f32_e64 v3, |v2|, s14
	v_and_b32_e32 v3, 0xff, v3
	v_cmp_ne_u32_e32 vcc, 0, v3
	s_andn2_b64 s[10:11], s[10:11], exec
	s_and_b64 s[16:17], vcc, exec
	s_mov_b32 s14, 0
	s_or_b64 s[10:11], s[10:11], s[16:17]
	s_or_b64 exec, exec, s[12:13]
	v_mov_b32_e32 v5, s14
	s_and_saveexec_b64 s[12:13], s[10:11]
	s_cbranch_execnz .LBB18_74
	s_branch .LBB18_75
.LBB18_319:
	s_mov_b64 s[8:9], -1
	s_mov_b64 s[0:1], 0
	s_mov_b64 s[2:3], s[54:55]
                                        ; implicit-def: $vgpr1
	s_branch .LBB18_324
.LBB18_320:
	s_mov_b64 s[10:11], -1
	s_mov_b64 s[8:9], 0
	s_mov_b64 s[0:1], s[52:53]
	s_branch .LBB18_334
.LBB18_321:
	s_or_saveexec_b64 s[12:13], s[12:13]
                                        ; implicit-def: $sgpr14
	s_xor_b64 exec, exec, s[12:13]
	s_cbranch_execz .LBB18_86
.LBB18_322:
	s_mov_b32 s14, 0x42800000
	v_add_f32_e64 v3, |v2|, s14
	v_and_b32_e32 v3, 0xff, v3
	v_cmp_ne_u32_e32 vcc, 0, v3
	s_andn2_b64 s[10:11], s[10:11], exec
	s_and_b64 s[16:17], vcc, exec
	s_mov_b32 s14, 0
	s_or_b64 s[10:11], s[10:11], s[16:17]
	s_or_b64 exec, exec, s[12:13]
	v_mov_b32_e32 v5, s14
	s_and_saveexec_b64 s[12:13], s[10:11]
	s_cbranch_execnz .LBB18_87
	s_branch .LBB18_88
.LBB18_323:
	s_mov_b64 s[2:3], -1
                                        ; implicit-def: $vgpr1
	s_mov_b64 s[0:1], 0
.LBB18_324:
	s_and_b64 vcc, exec, s[8:9]
	s_cbranch_vccz .LBB18_440
; %bb.325:
	v_cmp_eq_u16_e32 vcc, 44, v4
	s_cbranch_vccz .LBB18_439
; %bb.326:
	global_load_ubyte v1, v[2:3], off
	s_movk_i32 s2, 0xff
	v_mov_b32_e32 v5, 0x7f800001
	v_mov_b32_e32 v7, 0x400000
	s_mov_b64 s[0:1], -1
	s_waitcnt vmcnt(0)
	v_lshlrev_b32_e32 v8, 23, v1
	v_cmp_ne_u32_e32 vcc, s2, v1
	v_cndmask_b32_e32 v5, v5, v8, vcc
	v_cmp_ne_u32_e32 vcc, 0, v1
	v_cndmask_b32_e32 v1, v7, v5, vcc
	s_mov_b64 s[2:3], 0
	s_branch .LBB18_440
.LBB18_327:
	s_mov_b64 s[10:11], -1
	s_mov_b64 s[8:9], 0
	s_mov_b64 s[0:1], s[52:53]
.LBB18_328:
	s_and_b64 vcc, exec, s[10:11]
	s_cbranch_vccz .LBB18_333
; %bb.329:
	v_mov_b32_e32 v3, 44
	v_cmp_eq_u16_sdwa s[10:11], v6, v3 src0_sel:BYTE_0 src1_sel:DWORD
	s_mov_b64 s[0:1], -1
	s_and_b64 vcc, exec, s[10:11]
	s_cbranch_vccz .LBB18_333
; %bb.330:
	v_bfe_u32 v3, v2, 23, 8
	s_movk_i32 s0, 0xff
	v_cmp_ne_u32_e32 vcc, s0, v3
	v_mov_b32_e32 v5, 0xff
	s_and_saveexec_b64 s[8:9], vcc
; %bb.331:
	s_mov_b32 s0, 0x3fffff
	v_and_b32_e32 v7, 0x400000, v2
	v_and_or_b32 v3, v2, s0, v3
	v_cmp_ne_u32_e32 vcc, 0, v7
	v_cmp_ne_u32_e64 s[0:1], 0, v3
	s_and_b64 s[0:1], vcc, s[0:1]
	v_lshrrev_b32_e32 v5, 23, v2
	v_cndmask_b32_e64 v3, 0, 1, s[0:1]
	v_add_u32_e32 v5, v5, v3
; %bb.332:
	s_or_b64 exec, exec, s[8:9]
	s_mov_b64 s[8:9], -1
	s_mov_b64 s[0:1], 0
	global_store_byte v[0:1], v5, off
.LBB18_333:
	s_mov_b64 s[10:11], 0
.LBB18_334:
	s_and_b64 vcc, exec, s[10:11]
	s_cbranch_vccz .LBB18_337
; %bb.335:
	v_mov_b32_e32 v3, 29
	v_cmp_eq_u16_sdwa s[10:11], v6, v3 src0_sel:BYTE_0 src1_sel:DWORD
	s_mov_b64 s[0:1], -1
	s_and_b64 vcc, exec, s[10:11]
	s_cbranch_vccz .LBB18_337
; %bb.336:
	v_trunc_f32_e32 v3, v2
	v_mul_f32_e32 v5, 0x2f800000, v3
	v_floor_f32_e32 v5, v5
	v_fmac_f32_e32 v3, 0xcf800000, v5
	v_cvt_u32_f32_e32 v9, v5
	v_cvt_u32_f32_e32 v8, v3
	s_mov_b64 s[8:9], -1
	s_mov_b64 s[0:1], 0
	s_mov_b64 s[10:11], 0
	global_store_dwordx2 v[0:1], v[8:9], off
	s_branch .LBB18_338
.LBB18_337:
	s_mov_b64 s[10:11], 0
.LBB18_338:
	s_and_b64 vcc, exec, s[10:11]
	s_cbranch_vccz .LBB18_354
; %bb.339:
	v_mov_b32_e32 v3, 27
	v_cmp_lt_i16_sdwa s[10:11], v6, v3 src0_sel:BYTE_0 src1_sel:DWORD
	s_mov_b64 s[8:9], -1
	s_and_b64 vcc, exec, s[10:11]
	s_cbranch_vccnz .LBB18_345
; %bb.340:
	v_cmp_gt_i16_sdwa s[10:11], v6, v3 src0_sel:BYTE_0 src1_sel:DWORD
	v_cvt_u32_f32_e32 v3, v2
	s_and_b64 vcc, exec, s[10:11]
	s_cbranch_vccz .LBB18_342
; %bb.341:
	s_mov_b64 s[8:9], 0
	global_store_dword v[0:1], v3, off
.LBB18_342:
	s_andn2_b64 vcc, exec, s[8:9]
	s_cbranch_vccnz .LBB18_344
; %bb.343:
	global_store_short v[0:1], v3, off
.LBB18_344:
	s_mov_b64 s[8:9], 0
.LBB18_345:
	s_andn2_b64 vcc, exec, s[8:9]
	s_cbranch_vccnz .LBB18_353
; %bb.346:
	v_and_b32_e32 v3, 0x7fffffff, v2
	s_mov_b32 s8, 0x43800000
	v_cmp_gt_u32_e32 vcc, s8, v3
	v_mov_b32_e32 v5, 0x80
	s_and_saveexec_b64 s[8:9], vcc
	s_cbranch_execz .LBB18_352
; %bb.347:
	s_mov_b32 s10, 0x3bffffff
	v_cmp_lt_u32_e32 vcc, s10, v3
	s_mov_b64 s[10:11], 0
                                        ; implicit-def: $vgpr3
	s_and_saveexec_b64 s[12:13], vcc
	s_xor_b64 s[12:13], exec, s[12:13]
	s_cbranch_execz .LBB18_581
; %bb.348:
	v_bfe_u32 v3, v2, 20, 1
	s_mov_b32 s14, 0x487ffff
	v_add3_u32 v3, v2, v3, s14
	s_mov_b64 s[10:11], exec
	v_lshrrev_b32_e32 v3, 20, v3
	s_or_saveexec_b64 s[12:13], s[12:13]
                                        ; implicit-def: $sgpr14
	s_xor_b64 exec, exec, s[12:13]
	s_cbranch_execnz .LBB18_582
.LBB18_349:
	s_or_b64 exec, exec, s[12:13]
	v_mov_b32_e32 v5, s14
	s_and_saveexec_b64 s[12:13], s[10:11]
.LBB18_350:
	v_lshrrev_b32_e32 v5, 24, v2
	s_movk_i32 s10, 0x80
	v_and_or_b32 v5, v5, s10, v3
.LBB18_351:
	s_or_b64 exec, exec, s[12:13]
.LBB18_352:
	s_or_b64 exec, exec, s[8:9]
	global_store_byte v[0:1], v5, off
.LBB18_353:
	s_mov_b64 s[8:9], -1
.LBB18_354:
	s_mov_b64 s[10:11], 0
.LBB18_355:
	s_and_b64 vcc, exec, s[10:11]
	s_cbranch_vccz .LBB18_396
; %bb.356:
	v_mov_b32_e32 v3, 22
	v_cmp_gt_i16_sdwa s[12:13], v6, v3 src0_sel:BYTE_0 src1_sel:DWORD
	s_mov_b64 s[10:11], -1
	s_and_b64 vcc, exec, s[12:13]
	s_cbranch_vccz .LBB18_388
; %bb.357:
	v_mov_b32_e32 v3, 24
	v_cmp_lt_i16_sdwa s[10:11], v6, v3 src0_sel:BYTE_0 src1_sel:DWORD
	s_mov_b64 s[8:9], -1
	s_and_b64 vcc, exec, s[10:11]
	s_cbranch_vccnz .LBB18_377
; %bb.358:
	v_cmp_gt_i16_sdwa s[10:11], v6, v3 src0_sel:BYTE_0 src1_sel:DWORD
	s_and_b64 vcc, exec, s[10:11]
	s_cbranch_vccz .LBB18_366
; %bb.359:
	v_and_b32_e32 v3, 0x7fffffff, v2
	s_mov_b32 s8, 0x47800000
	v_cmp_gt_u32_e32 vcc, s8, v3
	v_mov_b32_e32 v5, 0x80
	s_and_saveexec_b64 s[8:9], vcc
	s_cbranch_execz .LBB18_365
; %bb.360:
	s_mov_b32 s10, 0x37ffffff
	v_cmp_lt_u32_e32 vcc, s10, v3
	s_mov_b64 s[10:11], 0
                                        ; implicit-def: $vgpr3
	s_and_saveexec_b64 s[12:13], vcc
	s_xor_b64 s[12:13], exec, s[12:13]
	s_cbranch_execz .LBB18_584
; %bb.361:
	v_bfe_u32 v3, v2, 21, 1
	s_mov_b32 s14, 0x88fffff
	v_add3_u32 v3, v2, v3, s14
	s_mov_b64 s[10:11], exec
	v_lshrrev_b32_e32 v3, 21, v3
	s_or_saveexec_b64 s[12:13], s[12:13]
                                        ; implicit-def: $sgpr14
	s_xor_b64 exec, exec, s[12:13]
	s_cbranch_execnz .LBB18_585
.LBB18_362:
	s_or_b64 exec, exec, s[12:13]
	v_mov_b32_e32 v5, s14
	s_and_saveexec_b64 s[12:13], s[10:11]
.LBB18_363:
	v_lshrrev_b32_e32 v5, 24, v2
	s_movk_i32 s10, 0x80
	v_and_or_b32 v5, v5, s10, v3
.LBB18_364:
	s_or_b64 exec, exec, s[12:13]
.LBB18_365:
	s_or_b64 exec, exec, s[8:9]
	s_mov_b64 s[8:9], 0
	global_store_byte v[0:1], v5, off
.LBB18_366:
	s_and_b64 vcc, exec, s[8:9]
	s_cbranch_vccz .LBB18_376
; %bb.367:
	v_and_b32_e32 v5, 0x7fffffff, v2
	s_mov_b32 s8, 0x43f00000
	v_cmp_gt_u32_e32 vcc, s8, v5
                                        ; implicit-def: $vgpr3
	s_and_saveexec_b64 s[8:9], vcc
	s_xor_b64 s[8:9], exec, s[8:9]
	s_cbranch_execz .LBB18_373
; %bb.368:
	s_mov_b32 s10, 0x3c7fffff
	v_cmp_lt_u32_e32 vcc, s10, v5
                                        ; implicit-def: $vgpr3
	s_and_saveexec_b64 s[10:11], vcc
	s_xor_b64 s[10:11], exec, s[10:11]
; %bb.369:
	v_bfe_u32 v3, v2, 20, 1
	s_mov_b32 s12, 0x407ffff
	v_add3_u32 v3, v2, v3, s12
	v_lshrrev_b32_e32 v5, 20, v3
	v_and_b32_e32 v3, 0xff00000, v3
	s_mov_b32 s12, 0x7f00000
	v_mov_b32_e32 v7, 0x7e
	v_cmp_ne_u32_e32 vcc, s12, v3
	v_cndmask_b32_e32 v3, v7, v5, vcc
; %bb.370:
	s_andn2_saveexec_b64 s[10:11], s[10:11]
; %bb.371:
	s_mov_b32 s12, 0x46800000
	v_add_f32_e64 v3, |v2|, s12
; %bb.372:
	s_or_b64 exec, exec, s[10:11]
                                        ; implicit-def: $vgpr5
.LBB18_373:
	s_andn2_saveexec_b64 s[8:9], s[8:9]
; %bb.374:
	s_mov_b32 s10, 0x7f800000
	v_mov_b32_e32 v3, 0x7e
	v_mov_b32_e32 v7, 0x7f
	v_cmp_lt_u32_e32 vcc, s10, v5
	v_cndmask_b32_e32 v3, v3, v7, vcc
; %bb.375:
	s_or_b64 exec, exec, s[8:9]
	v_lshrrev_b32_e32 v5, 24, v2
	s_movk_i32 s8, 0x80
	v_and_or_b32 v3, v5, s8, v3
	global_store_byte v[0:1], v3, off
.LBB18_376:
	s_mov_b64 s[8:9], 0
.LBB18_377:
	s_andn2_b64 vcc, exec, s[8:9]
	s_cbranch_vccnz .LBB18_387
; %bb.378:
	v_and_b32_e32 v5, 0x7fffffff, v2
	s_mov_b32 s8, 0x47800000
	v_cmp_gt_u32_e32 vcc, s8, v5
                                        ; implicit-def: $vgpr3
	s_and_saveexec_b64 s[8:9], vcc
	s_xor_b64 s[8:9], exec, s[8:9]
	s_cbranch_execz .LBB18_384
; %bb.379:
	s_mov_b32 s10, 0x387fffff
	v_cmp_lt_u32_e32 vcc, s10, v5
                                        ; implicit-def: $vgpr3
	s_and_saveexec_b64 s[10:11], vcc
	s_xor_b64 s[10:11], exec, s[10:11]
; %bb.380:
	v_bfe_u32 v3, v2, 21, 1
	s_mov_b32 s12, 0x80fffff
	v_add3_u32 v3, v2, v3, s12
	v_lshrrev_b32_e32 v3, 21, v3
; %bb.381:
	s_andn2_saveexec_b64 s[10:11], s[10:11]
; %bb.382:
	s_mov_b32 s12, 0x43000000
	v_add_f32_e64 v3, |v2|, s12
; %bb.383:
	s_or_b64 exec, exec, s[10:11]
                                        ; implicit-def: $vgpr5
.LBB18_384:
	s_andn2_saveexec_b64 s[8:9], s[8:9]
; %bb.385:
	s_mov_b32 s10, 0x7f800000
	v_mov_b32_e32 v3, 0x7c
	v_mov_b32_e32 v7, 0x7f
	v_cmp_lt_u32_e32 vcc, s10, v5
	v_cndmask_b32_e32 v3, v3, v7, vcc
; %bb.386:
	s_or_b64 exec, exec, s[8:9]
	v_lshrrev_b32_e32 v5, 24, v2
	s_movk_i32 s8, 0x80
	v_and_or_b32 v3, v5, s8, v3
	global_store_byte v[0:1], v3, off
.LBB18_387:
	s_mov_b64 s[10:11], 0
	s_mov_b64 s[8:9], -1
.LBB18_388:
	s_andn2_b64 vcc, exec, s[10:11]
	s_cbranch_vccnz .LBB18_396
; %bb.389:
	v_mov_b32_e32 v3, 14
	v_cmp_gt_i16_sdwa s[12:13], v6, v3 src0_sel:BYTE_0 src1_sel:DWORD
	s_mov_b64 s[10:11], -1
	s_and_b64 vcc, exec, s[12:13]
	s_cbranch_vccz .LBB18_393
; %bb.390:
	v_mov_b32_e32 v3, 15
	v_cmp_eq_u16_sdwa s[10:11], v6, v3 src0_sel:BYTE_0 src1_sel:DWORD
	s_mov_b64 s[0:1], -1
	s_and_b64 vcc, exec, s[10:11]
	s_cbranch_vccz .LBB18_392
; %bb.391:
	v_bfe_u32 v3, v2, 16, 1
	s_movk_i32 s0, 0x7fff
	v_add3_u32 v3, v2, v3, s0
	v_lshrrev_b32_e32 v3, 16, v3
	v_mov_b32_e32 v5, 0x7fc0
	v_cmp_o_f32_e32 vcc, v2, v2
	v_cndmask_b32_e32 v3, v5, v3, vcc
	global_store_short v[0:1], v3, off
	s_mov_b64 s[8:9], -1
	s_mov_b64 s[0:1], 0
.LBB18_392:
	s_mov_b64 s[10:11], 0
.LBB18_393:
	s_and_b64 vcc, exec, s[10:11]
	s_cbranch_vccz .LBB18_396
; %bb.394:
	v_mov_b32_e32 v3, 11
	v_cmp_eq_u16_sdwa s[10:11], v6, v3 src0_sel:BYTE_0 src1_sel:DWORD
	s_mov_b64 s[0:1], -1
	s_and_b64 vcc, exec, s[10:11]
	s_cbranch_vccz .LBB18_396
; %bb.395:
	v_cmp_neq_f32_e32 vcc, 0, v2
	v_cndmask_b32_e64 v3, 0, 1, vcc
	s_mov_b64 s[8:9], -1
	s_mov_b64 s[0:1], 0
	global_store_byte v[0:1], v3, off
.LBB18_396:
	s_mov_b64 s[10:11], 0
.LBB18_397:
	s_and_b64 vcc, exec, s[10:11]
	s_cbranch_vccz .LBB18_436
; %bb.398:
	v_mov_b32_e32 v3, 5
	v_cmp_lt_i16_sdwa s[10:11], v6, v3 src0_sel:BYTE_0 src1_sel:DWORD
	s_mov_b64 s[8:9], -1
	s_and_b64 vcc, exec, s[10:11]
	s_cbranch_vccnz .LBB18_419
; %bb.399:
	v_mov_b32_e32 v3, 8
	v_cmp_lt_i16_sdwa s[10:11], v6, v3 src0_sel:BYTE_0 src1_sel:DWORD
	s_and_b64 vcc, exec, s[10:11]
	s_cbranch_vccnz .LBB18_409
; %bb.400:
	v_mov_b32_e32 v3, 9
	v_cmp_lt_i16_sdwa s[10:11], v6, v3 src0_sel:BYTE_0 src1_sel:DWORD
	s_and_b64 vcc, exec, s[10:11]
	s_cbranch_vccnz .LBB18_406
; %bb.401:
	v_cmp_gt_i16_sdwa s[10:11], v6, v3 src0_sel:BYTE_0 src1_sel:DWORD
	s_and_b64 vcc, exec, s[10:11]
	s_cbranch_vccz .LBB18_403
; %bb.402:
	v_mov_b32_e32 v10, 0
	v_cvt_f64_f32_e32 v[8:9], v2
	v_mov_b32_e32 v11, v10
	s_mov_b64 s[8:9], 0
	global_store_dwordx4 v[0:1], v[8:11], off
.LBB18_403:
	s_andn2_b64 vcc, exec, s[8:9]
	s_cbranch_vccnz .LBB18_405
; %bb.404:
	v_mov_b32_e32 v3, 0
	global_store_dwordx2 v[0:1], v[2:3], off
.LBB18_405:
	s_mov_b64 s[8:9], 0
.LBB18_406:
	s_andn2_b64 vcc, exec, s[8:9]
	s_cbranch_vccnz .LBB18_408
; %bb.407:
	v_cvt_f16_f32_e32 v3, v2
	global_store_dword v[0:1], v3, off
.LBB18_408:
	s_mov_b64 s[8:9], 0
.LBB18_409:
	s_andn2_b64 vcc, exec, s[8:9]
	s_cbranch_vccnz .LBB18_418
; %bb.410:
	v_mov_b32_e32 v3, 6
	v_cmp_lt_i16_sdwa s[10:11], v6, v3 src0_sel:BYTE_0 src1_sel:DWORD
	s_mov_b64 s[8:9], -1
	s_and_b64 vcc, exec, s[10:11]
	s_cbranch_vccnz .LBB18_416
; %bb.411:
	v_cmp_gt_i16_sdwa s[10:11], v6, v3 src0_sel:BYTE_0 src1_sel:DWORD
	s_and_b64 vcc, exec, s[10:11]
	s_cbranch_vccz .LBB18_413
; %bb.412:
	v_cvt_f64_f32_e32 v[8:9], v2
	s_mov_b64 s[8:9], 0
	global_store_dwordx2 v[0:1], v[8:9], off
.LBB18_413:
	s_andn2_b64 vcc, exec, s[8:9]
	s_cbranch_vccnz .LBB18_415
; %bb.414:
	global_store_dword v[0:1], v2, off
.LBB18_415:
	s_mov_b64 s[8:9], 0
.LBB18_416:
	s_andn2_b64 vcc, exec, s[8:9]
	s_cbranch_vccnz .LBB18_418
; %bb.417:
	v_cvt_f16_f32_e32 v3, v2
	global_store_short v[0:1], v3, off
.LBB18_418:
	s_mov_b64 s[8:9], 0
.LBB18_419:
	s_andn2_b64 vcc, exec, s[8:9]
	s_cbranch_vccnz .LBB18_435
; %bb.420:
	v_mov_b32_e32 v3, 2
	v_cmp_lt_i16_sdwa s[10:11], v6, v3 src0_sel:BYTE_0 src1_sel:DWORD
	s_mov_b64 s[8:9], -1
	s_and_b64 vcc, exec, s[10:11]
	s_cbranch_vccnz .LBB18_430
; %bb.421:
	v_mov_b32_e32 v3, 3
	v_cmp_lt_i16_sdwa s[10:11], v6, v3 src0_sel:BYTE_0 src1_sel:DWORD
	s_and_b64 vcc, exec, s[10:11]
	s_cbranch_vccnz .LBB18_427
; %bb.422:
	v_cmp_gt_i16_sdwa s[10:11], v6, v3 src0_sel:BYTE_0 src1_sel:DWORD
	s_and_b64 vcc, exec, s[10:11]
	s_cbranch_vccz .LBB18_424
; %bb.423:
	v_trunc_f32_e32 v3, v2
	s_mov_b32 s8, 0x2f800000
	v_mul_f32_e64 v5, |v3|, s8
	v_floor_f32_e32 v5, v5
	s_mov_b32 s8, 0xcf800000
	v_cvt_u32_f32_e32 v7, v5
	v_fma_f32 v5, v5, s8, |v3|
	v_cvt_u32_f32_e32 v5, v5
	v_ashrrev_i32_e32 v3, 31, v3
	v_xor_b32_e32 v7, v7, v3
	s_mov_b64 s[8:9], 0
	v_xor_b32_e32 v5, v5, v3
	v_sub_co_u32_e32 v8, vcc, v5, v3
	v_subb_co_u32_e32 v9, vcc, v7, v3, vcc
	global_store_dwordx2 v[0:1], v[8:9], off
.LBB18_424:
	s_andn2_b64 vcc, exec, s[8:9]
	s_cbranch_vccnz .LBB18_426
; %bb.425:
	v_cvt_i32_f32_e32 v3, v2
	global_store_dword v[0:1], v3, off
.LBB18_426:
	s_mov_b64 s[8:9], 0
.LBB18_427:
	s_andn2_b64 vcc, exec, s[8:9]
	s_cbranch_vccnz .LBB18_429
; %bb.428:
	v_cvt_i32_f32_e32 v3, v2
	global_store_short v[0:1], v3, off
.LBB18_429:
	s_mov_b64 s[8:9], 0
.LBB18_430:
	s_andn2_b64 vcc, exec, s[8:9]
	s_cbranch_vccnz .LBB18_435
; %bb.431:
	v_mov_b32_e32 v3, 0
	v_cmp_gt_i16_sdwa s[10:11], v6, v3 src0_sel:BYTE_0 src1_sel:DWORD
	s_mov_b64 s[8:9], -1
	s_and_b64 vcc, exec, s[10:11]
	s_cbranch_vccz .LBB18_433
; %bb.432:
	v_cvt_i32_f32_e32 v3, v2
	s_mov_b64 s[8:9], 0
	global_store_byte v[0:1], v3, off
.LBB18_433:
	s_andn2_b64 vcc, exec, s[8:9]
	s_cbranch_vccnz .LBB18_435
; %bb.434:
	v_trunc_f32_e32 v2, v2
	s_mov_b32 s8, 0x2f800000
	v_mul_f32_e64 v3, |v2|, s8
	v_floor_f32_e32 v3, v3
	s_mov_b32 s8, 0xcf800000
	v_fma_f32 v3, v3, s8, |v2|
	v_cvt_u32_f32_e32 v3, v3
	v_ashrrev_i32_e32 v2, 31, v2
	v_xor_b32_e32 v3, v3, v2
	v_sub_u32_e32 v2, v3, v2
	global_store_byte v[0:1], v2, off
.LBB18_435:
	s_mov_b64 s[8:9], -1
.LBB18_436:
	s_andn2_b64 vcc, exec, s[8:9]
	s_cbranch_vccnz .LBB18_438
; %bb.437:
	v_add_u32_e32 v12, 0x80, v12
	s_mov_b64 s[8:9], -1
	s_branch .LBB18_551
.LBB18_438:
	s_mov_b64 s[8:9], 0
	s_branch .LBB18_550
.LBB18_439:
	s_mov_b64 s[2:3], -1
                                        ; implicit-def: $vgpr1
.LBB18_440:
	s_mov_b64 s[8:9], 0
.LBB18_441:
	s_and_b64 vcc, exec, s[8:9]
	s_cbranch_vccz .LBB18_445
; %bb.442:
	v_cmp_eq_u16_e32 vcc, 29, v4
	s_cbranch_vccz .LBB18_444
; %bb.443:
	global_load_dwordx2 v[8:9], v[2:3], off
	s_mov_b64 s[0:1], -1
	s_mov_b64 s[2:3], 0
	s_mov_b64 s[8:9], 0
	s_waitcnt vmcnt(0)
	v_ffbh_u32_e32 v1, v9
	v_min_u32_e32 v1, 32, v1
	v_lshlrev_b64 v[8:9], v1, v[8:9]
	v_min_u32_e32 v5, 1, v8
	v_or_b32_e32 v5, v9, v5
	v_cvt_f32_u32_e32 v5, v5
	v_sub_u32_e32 v1, 32, v1
	v_ldexp_f32 v1, v5, v1
	s_branch .LBB18_446
.LBB18_444:
	s_mov_b64 s[2:3], -1
                                        ; implicit-def: $vgpr1
.LBB18_445:
	s_mov_b64 s[8:9], 0
.LBB18_446:
	s_and_b64 vcc, exec, s[8:9]
	s_cbranch_vccz .LBB18_464
; %bb.447:
	v_cmp_gt_i16_e32 vcc, 27, v4
	s_cbranch_vccnz .LBB18_450
; %bb.448:
	v_cmp_lt_i16_e32 vcc, 27, v4
	s_cbranch_vccz .LBB18_451
; %bb.449:
	global_load_dword v1, v[2:3], off
	s_mov_b64 s[0:1], 0
	s_waitcnt vmcnt(0)
	v_cvt_f32_u32_e32 v1, v1
	s_branch .LBB18_452
.LBB18_450:
	s_mov_b64 s[0:1], -1
                                        ; implicit-def: $vgpr1
	s_branch .LBB18_455
.LBB18_451:
	s_mov_b64 s[0:1], -1
                                        ; implicit-def: $vgpr1
.LBB18_452:
	s_andn2_b64 vcc, exec, s[0:1]
	s_cbranch_vccnz .LBB18_454
; %bb.453:
	global_load_ushort v1, v[2:3], off
	s_waitcnt vmcnt(0)
	v_cvt_f32_u32_e32 v1, v1
.LBB18_454:
	s_mov_b64 s[0:1], 0
.LBB18_455:
	s_andn2_b64 vcc, exec, s[0:1]
	s_cbranch_vccnz .LBB18_463
; %bb.456:
	global_load_ubyte v5, v[2:3], off
	s_movk_i32 s0, 0x7f
                                        ; implicit-def: $sgpr12
	s_waitcnt vmcnt(0)
	v_cmp_lt_i16_e32 vcc, s0, v5
	s_mov_b64 s[0:1], 0
	s_and_saveexec_b64 s[8:9], vcc
	s_xor_b64 s[8:9], exec, s[8:9]
	s_cbranch_execz .LBB18_477
; %bb.457:
	s_movk_i32 s0, 0x80
	v_cmp_eq_u16_e32 vcc, s0, v5
	s_mov_b64 s[0:1], -1
                                        ; implicit-def: $sgpr12
	s_and_saveexec_b64 s[10:11], vcc
; %bb.458:
	s_mov_b32 s12, 0x7f800001
	s_xor_b64 s[0:1], exec, -1
; %bb.459:
	s_or_b64 exec, exec, s[10:11]
	s_and_b64 s[0:1], s[0:1], exec
	s_or_saveexec_b64 s[8:9], s[8:9]
	v_mov_b32_e32 v1, s12
	s_xor_b64 exec, exec, s[8:9]
	s_cbranch_execnz .LBB18_478
.LBB18_460:
	s_or_b64 exec, exec, s[8:9]
	s_and_saveexec_b64 s[8:9], s[0:1]
	s_cbranch_execz .LBB18_462
.LBB18_461:
	v_lshlrev_b32_e32 v1, 24, v5
	v_and_b32_e32 v5, 0xffff, v5
	v_and_b32_e32 v7, 7, v5
	v_ffbh_u32_e32 v9, v7
	v_min_u32_e32 v9, 32, v9
	v_subrev_u32_e32 v10, 28, v9
	v_bfe_u32 v8, v5, 3, 4
	v_lshlrev_b32_e32 v5, v10, v5
	v_sub_u32_e32 v9, 29, v9
	v_and_b32_e32 v5, 7, v5
	v_cmp_eq_u32_e32 vcc, 0, v8
	v_cndmask_b32_e32 v8, v8, v9, vcc
	v_cndmask_b32_e32 v5, v7, v5, vcc
	v_mov_b32_e32 v7, 0x3b800000
	v_lshlrev_b32_e32 v5, 20, v5
	v_and_b32_e32 v1, 0x80000000, v1
	v_lshl_add_u32 v7, v8, 23, v7
	v_or3_b32 v1, v1, v7, v5
.LBB18_462:
	s_or_b64 exec, exec, s[8:9]
.LBB18_463:
	s_mov_b64 s[0:1], -1
.LBB18_464:
	s_mov_b64 s[8:9], 0
.LBB18_465:
	s_and_b64 vcc, exec, s[8:9]
	s_cbranch_vccz .LBB18_500
; %bb.466:
	v_cmp_lt_i16_e32 vcc, 22, v4
	s_cbranch_vccz .LBB18_476
; %bb.467:
	v_cmp_gt_i16_e32 vcc, 24, v4
	s_cbranch_vccnz .LBB18_479
; %bb.468:
	v_cmp_lt_i16_e32 vcc, 24, v4
	s_cbranch_vccz .LBB18_480
; %bb.469:
	global_load_ubyte v5, v[2:3], off
	s_movk_i32 s0, 0x7f
                                        ; implicit-def: $sgpr12
	s_waitcnt vmcnt(0)
	v_cmp_lt_i16_e32 vcc, s0, v5
	s_mov_b64 s[0:1], 0
	s_and_saveexec_b64 s[8:9], vcc
	s_xor_b64 s[8:9], exec, s[8:9]
	s_cbranch_execz .LBB18_492
; %bb.470:
	s_movk_i32 s0, 0x80
	v_cmp_eq_u16_e32 vcc, s0, v5
	s_mov_b64 s[0:1], -1
                                        ; implicit-def: $sgpr12
	s_and_saveexec_b64 s[10:11], vcc
; %bb.471:
	s_mov_b32 s12, 0x7f800001
	s_xor_b64 s[0:1], exec, -1
; %bb.472:
	s_or_b64 exec, exec, s[10:11]
	s_and_b64 s[0:1], s[0:1], exec
	s_or_saveexec_b64 s[8:9], s[8:9]
	v_mov_b32_e32 v1, s12
	s_xor_b64 exec, exec, s[8:9]
	s_cbranch_execnz .LBB18_493
.LBB18_473:
	s_or_b64 exec, exec, s[8:9]
	s_and_saveexec_b64 s[8:9], s[0:1]
	s_cbranch_execz .LBB18_475
.LBB18_474:
	v_lshlrev_b32_e32 v1, 24, v5
	v_and_b32_e32 v5, 0xffff, v5
	v_and_b32_e32 v7, 3, v5
	v_ffbh_u32_e32 v9, v7
	v_min_u32_e32 v9, 32, v9
	v_subrev_u32_e32 v10, 29, v9
	v_bfe_u32 v8, v5, 2, 5
	v_lshlrev_b32_e32 v5, v10, v5
	v_sub_u32_e32 v9, 30, v9
	v_and_b32_e32 v5, 3, v5
	v_cmp_eq_u32_e32 vcc, 0, v8
	v_cndmask_b32_e32 v8, v8, v9, vcc
	v_cndmask_b32_e32 v5, v7, v5, vcc
	v_mov_b32_e32 v7, 0x37800000
	v_lshlrev_b32_e32 v5, 21, v5
	v_and_b32_e32 v1, 0x80000000, v1
	v_lshl_add_u32 v7, v8, 23, v7
	v_or3_b32 v1, v1, v7, v5
.LBB18_475:
	s_or_b64 exec, exec, s[8:9]
	s_mov_b64 s[0:1], 0
	s_branch .LBB18_481
.LBB18_476:
	s_mov_b64 s[8:9], -1
                                        ; implicit-def: $vgpr1
	s_branch .LBB18_487
.LBB18_477:
	s_or_saveexec_b64 s[8:9], s[8:9]
	v_mov_b32_e32 v1, s12
	s_xor_b64 exec, exec, s[8:9]
	s_cbranch_execz .LBB18_460
.LBB18_478:
	v_cmp_ne_u16_e32 vcc, 0, v5
	s_andn2_b64 s[0:1], s[0:1], exec
	s_and_b64 s[10:11], vcc, exec
	v_mov_b32_e32 v1, 0
	s_or_b64 s[0:1], s[0:1], s[10:11]
	s_or_b64 exec, exec, s[8:9]
	s_and_saveexec_b64 s[8:9], s[0:1]
	s_cbranch_execnz .LBB18_461
	s_branch .LBB18_462
.LBB18_479:
	s_mov_b64 s[0:1], -1
                                        ; implicit-def: $vgpr1
	s_branch .LBB18_484
.LBB18_480:
	s_mov_b64 s[0:1], -1
                                        ; implicit-def: $vgpr1
.LBB18_481:
	s_and_b64 vcc, exec, s[0:1]
	s_cbranch_vccz .LBB18_483
; %bb.482:
	global_load_ubyte v1, v[2:3], off
	s_mov_b32 s0, 0x7f800000
	s_waitcnt vmcnt(0)
	v_lshlrev_b32_e32 v1, 24, v1
	v_and_b32_e32 v5, 0x7f000000, v1
	v_ffbh_u32_e32 v7, v5
	v_min_u32_e32 v7, 32, v7
	v_sub_u32_e64 v7, v7, 4 clamp
	v_lshlrev_b32_e32 v9, v7, v5
	v_lshlrev_b32_e32 v7, 23, v7
	v_lshrrev_b32_e32 v9, 4, v9
	v_add_u32_e32 v8, 0x1000000, v5
	v_sub_u32_e32 v7, v9, v7
	v_ashrrev_i32_e32 v8, 8, v8
	v_add_u32_e32 v7, 0x3c000000, v7
	v_and_or_b32 v7, v8, s0, v7
	v_cmp_ne_u32_e32 vcc, 0, v5
	v_cndmask_b32_e32 v5, 0, v7, vcc
	s_brev_b32 s0, 1
	v_and_or_b32 v1, v1, s0, v5
.LBB18_483:
	s_mov_b64 s[0:1], 0
.LBB18_484:
	s_andn2_b64 vcc, exec, s[0:1]
	s_cbranch_vccnz .LBB18_486
; %bb.485:
	global_load_ubyte v1, v[2:3], off
	s_movk_i32 s0, 0x7f00
	s_brev_b32 s1, 16
	s_waitcnt vmcnt(0)
	v_lshlrev_b16_e32 v5, 8, v1
	v_lshlrev_b32_e32 v1, 25, v1
	v_lshrrev_b32_e32 v7, 4, v1
	v_and_or_b32 v8, v5, s0, 0.5
	v_or_b32_e32 v7, 0x70000000, v7
	v_add_f32_e32 v8, -0.5, v8
	v_mul_f32_e32 v7, 0x7800000, v7
	v_cmp_gt_u32_e32 vcc, s1, v1
	v_bfe_i32 v5, v5, 0, 16
	v_cndmask_b32_e32 v1, v7, v8, vcc
	s_brev_b32 s0, 1
	v_and_or_b32 v1, v5, s0, v1
.LBB18_486:
	s_mov_b64 s[8:9], 0
	s_mov_b64 s[0:1], -1
.LBB18_487:
	s_andn2_b64 vcc, exec, s[8:9]
	s_cbranch_vccnz .LBB18_500
; %bb.488:
	v_cmp_lt_i16_e32 vcc, 14, v4
	s_cbranch_vccz .LBB18_491
; %bb.489:
	v_cmp_eq_u16_e32 vcc, 15, v4
	s_cbranch_vccz .LBB18_494
; %bb.490:
	global_load_ushort v1, v[2:3], off
	s_mov_b64 s[0:1], -1
	s_mov_b64 s[2:3], 0
	s_waitcnt vmcnt(0)
	v_lshlrev_b32_e32 v1, 16, v1
	s_branch .LBB18_495
.LBB18_491:
	s_mov_b64 s[8:9], -1
                                        ; implicit-def: $vgpr1
	s_branch .LBB18_496
.LBB18_492:
	s_or_saveexec_b64 s[8:9], s[8:9]
	v_mov_b32_e32 v1, s12
	s_xor_b64 exec, exec, s[8:9]
	s_cbranch_execz .LBB18_473
.LBB18_493:
	v_cmp_ne_u16_e32 vcc, 0, v5
	s_andn2_b64 s[0:1], s[0:1], exec
	s_and_b64 s[10:11], vcc, exec
	v_mov_b32_e32 v1, 0
	s_or_b64 s[0:1], s[0:1], s[10:11]
	s_or_b64 exec, exec, s[8:9]
	s_and_saveexec_b64 s[8:9], s[0:1]
	s_cbranch_execnz .LBB18_474
	s_branch .LBB18_475
.LBB18_494:
	s_mov_b64 s[2:3], -1
                                        ; implicit-def: $vgpr1
.LBB18_495:
	s_mov_b64 s[8:9], 0
.LBB18_496:
	s_and_b64 vcc, exec, s[8:9]
	s_cbranch_vccz .LBB18_500
; %bb.497:
	v_cmp_eq_u16_e32 vcc, 11, v4
	s_cbranch_vccz .LBB18_499
; %bb.498:
	global_load_ubyte v1, v[2:3], off
	s_mov_b64 s[0:1], -1
	s_mov_b64 s[2:3], 0
	s_waitcnt vmcnt(0)
	v_cmp_ne_u16_e32 vcc, 0, v1
	v_cndmask_b32_e64 v1, 0, 1.0, vcc
	s_branch .LBB18_500
.LBB18_499:
	s_mov_b64 s[2:3], -1
                                        ; implicit-def: $vgpr1
.LBB18_500:
	s_branch .LBB18_299
.LBB18_501:
	v_cmp_gt_i16_e32 vcc, 5, v4
	s_cbranch_vccnz .LBB18_506
; %bb.502:
	v_cmp_gt_i16_e32 vcc, 8, v4
	s_cbranch_vccnz .LBB18_507
; %bb.503:
	;; [unrolled: 3-line block ×3, first 2 shown]
	v_cmp_lt_i16_e32 vcc, 9, v4
	s_cbranch_vccz .LBB18_509
; %bb.505:
	global_load_dwordx2 v[8:9], v[2:3], off
	s_mov_b64 s[0:1], 0
	s_waitcnt vmcnt(0)
	v_cvt_f32_f64_e32 v1, v[8:9]
	s_branch .LBB18_510
.LBB18_506:
	s_mov_b64 s[0:1], -1
                                        ; implicit-def: $vgpr1
	s_branch .LBB18_528
.LBB18_507:
	s_mov_b64 s[0:1], -1
                                        ; implicit-def: $vgpr1
	s_branch .LBB18_516
.LBB18_508:
	s_mov_b64 s[0:1], -1
                                        ; implicit-def: $vgpr1
	s_branch .LBB18_513
.LBB18_509:
	s_mov_b64 s[0:1], -1
                                        ; implicit-def: $vgpr1
.LBB18_510:
	s_andn2_b64 vcc, exec, s[0:1]
	s_cbranch_vccnz .LBB18_512
; %bb.511:
	global_load_dword v1, v[2:3], off
.LBB18_512:
	s_mov_b64 s[0:1], 0
.LBB18_513:
	s_andn2_b64 vcc, exec, s[0:1]
	s_cbranch_vccnz .LBB18_515
; %bb.514:
	global_load_dword v1, v[2:3], off
	s_waitcnt vmcnt(0)
	v_cvt_f32_f16_e32 v1, v1
.LBB18_515:
	s_mov_b64 s[0:1], 0
.LBB18_516:
	s_andn2_b64 vcc, exec, s[0:1]
	s_cbranch_vccnz .LBB18_527
; %bb.517:
	v_cmp_gt_i16_e32 vcc, 6, v4
	s_cbranch_vccnz .LBB18_520
; %bb.518:
	v_cmp_lt_i16_e32 vcc, 6, v4
	s_cbranch_vccz .LBB18_521
; %bb.519:
	global_load_dwordx2 v[8:9], v[2:3], off
	s_mov_b64 s[0:1], 0
	s_waitcnt vmcnt(0)
	v_cvt_f32_f64_e32 v1, v[8:9]
	s_branch .LBB18_522
.LBB18_520:
	s_mov_b64 s[0:1], -1
                                        ; implicit-def: $vgpr1
	s_branch .LBB18_525
.LBB18_521:
	s_mov_b64 s[0:1], -1
                                        ; implicit-def: $vgpr1
.LBB18_522:
	s_andn2_b64 vcc, exec, s[0:1]
	s_cbranch_vccnz .LBB18_524
; %bb.523:
	global_load_dword v1, v[2:3], off
.LBB18_524:
	s_mov_b64 s[0:1], 0
.LBB18_525:
	s_andn2_b64 vcc, exec, s[0:1]
	s_cbranch_vccnz .LBB18_527
; %bb.526:
	global_load_ushort v1, v[2:3], off
	s_waitcnt vmcnt(0)
	v_cvt_f32_f16_e32 v1, v1
.LBB18_527:
	s_mov_b64 s[0:1], 0
.LBB18_528:
	s_andn2_b64 vcc, exec, s[0:1]
	s_cbranch_vccnz .LBB18_548
; %bb.529:
	v_cmp_gt_i16_e32 vcc, 2, v4
	s_cbranch_vccnz .LBB18_533
; %bb.530:
	v_cmp_gt_i16_e32 vcc, 3, v4
	s_cbranch_vccnz .LBB18_534
; %bb.531:
	v_cmp_lt_i16_e32 vcc, 3, v4
	s_cbranch_vccz .LBB18_535
; %bb.532:
	global_load_dwordx2 v[8:9], v[2:3], off
	s_mov_b64 s[0:1], 0
	s_waitcnt vmcnt(0)
	v_xor_b32_e32 v5, v8, v9
	v_ffbh_i32_e32 v1, v9
	v_ashrrev_i32_e32 v5, 31, v5
	v_add_u32_e32 v1, -1, v1
	v_add_u32_e32 v5, 32, v5
	v_min_u32_e32 v1, v1, v5
	v_lshlrev_b64 v[8:9], v1, v[8:9]
	v_min_u32_e32 v5, 1, v8
	v_or_b32_e32 v5, v9, v5
	v_cvt_f32_i32_e32 v5, v5
	v_sub_u32_e32 v1, 32, v1
	v_ldexp_f32 v1, v5, v1
	s_branch .LBB18_536
.LBB18_533:
	s_mov_b64 s[0:1], -1
                                        ; implicit-def: $vgpr1
	s_branch .LBB18_542
.LBB18_534:
	s_mov_b64 s[0:1], -1
                                        ; implicit-def: $vgpr1
	s_branch .LBB18_539
.LBB18_535:
	s_mov_b64 s[0:1], -1
                                        ; implicit-def: $vgpr1
.LBB18_536:
	s_andn2_b64 vcc, exec, s[0:1]
	s_cbranch_vccnz .LBB18_538
; %bb.537:
	global_load_dword v1, v[2:3], off
	s_waitcnt vmcnt(0)
	v_cvt_f32_i32_e32 v1, v1
.LBB18_538:
	s_mov_b64 s[0:1], 0
.LBB18_539:
	s_andn2_b64 vcc, exec, s[0:1]
	s_cbranch_vccnz .LBB18_541
; %bb.540:
	global_load_sshort v1, v[2:3], off
	s_waitcnt vmcnt(0)
	v_cvt_f32_i32_e32 v1, v1
.LBB18_541:
	s_mov_b64 s[0:1], 0
.LBB18_542:
	s_andn2_b64 vcc, exec, s[0:1]
	s_cbranch_vccnz .LBB18_548
; %bb.543:
	v_cmp_lt_i16_e32 vcc, 0, v4
	s_cbranch_vccz .LBB18_545
; %bb.544:
	global_load_sbyte v1, v[2:3], off
	s_mov_b64 s[0:1], 0
	s_waitcnt vmcnt(0)
	v_cvt_f32_i32_e32 v1, v1
	s_branch .LBB18_546
.LBB18_545:
	s_mov_b64 s[0:1], -1
                                        ; implicit-def: $vgpr1
.LBB18_546:
	s_andn2_b64 vcc, exec, s[0:1]
	s_cbranch_vccnz .LBB18_548
; %bb.547:
	global_load_ubyte v1, v[2:3], off
	s_waitcnt vmcnt(0)
	v_cvt_f32_ubyte0_e32 v1, v1
.LBB18_548:
	s_branch .LBB18_300
.LBB18_549:
	s_mov_b64 s[8:9], 0
	s_mov_b64 s[0:1], s[52:53]
.LBB18_550:
                                        ; implicit-def: $vgpr12
.LBB18_551:
	s_andn2_b64 s[10:11], s[52:53], exec
	s_and_b64 s[0:1], s[0:1], exec
	s_or_b64 s[60:61], s[10:11], s[0:1]
	s_andn2_b64 s[0:1], s[54:55], exec
	s_and_b64 s[2:3], s[2:3], exec
	s_or_b64 s[58:59], s[0:1], s[2:3]
	s_orn2_b64 s[0:1], s[8:9], exec
.LBB18_552:
	s_or_b64 exec, exec, s[62:63]
	s_mov_b64 s[2:3], 0
	s_mov_b64 s[8:9], 0
	;; [unrolled: 1-line block ×3, first 2 shown]
                                        ; implicit-def: $vgpr2_vgpr3
                                        ; implicit-def: $vgpr0
                                        ; implicit-def: $vgpr7
	s_and_saveexec_b64 s[62:63], s[0:1]
	s_cbranch_execz .LBB18_933
; %bb.553:
	v_cmp_gt_i32_e32 vcc, s72, v12
	s_mov_b64 s[2:3], -1
	s_mov_b64 s[66:67], s[58:59]
	s_mov_b64 s[68:69], s[60:61]
	s_and_saveexec_b64 s[64:65], vcc
	s_cbranch_execz .LBB18_832
; %bb.554:
	s_andn2_b64 vcc, exec, s[40:41]
	s_cbranch_vccnz .LBB18_560
; %bb.555:
	s_mov_b32 s66, 0
	s_andn2_b64 vcc, exec, s[50:51]
	v_mov_b32_e32 v2, 0
	v_mov_b32_e32 v0, 0
	s_cbranch_vccnz .LBB18_566
; %bb.556:
	s_add_i32 s75, s73, 1
	s_cmp_eq_u32 s74, 2
	s_cbranch_scc1 .LBB18_561
; %bb.557:
	s_and_b32 s66, s75, 28
	s_mov_b32 s67, 0
	v_mov_b32_e32 v0, 0
	s_mov_b64 s[68:69], s[34:35]
	s_mov_b64 s[70:71], s[48:49]
	v_mov_b32_e32 v3, v12
	v_mov_b32_e32 v2, 0
.LBB18_558:                             ; =>This Inner Loop Header: Depth=1
	s_load_dwordx8 s[16:23], s[68:69], 0x4
	s_load_dwordx4 s[0:3], s[68:69], 0x24
	s_load_dwordx8 s[8:15], s[70:71], 0x0
	s_add_u32 s68, s68, 48
	s_addc_u32 s69, s69, 0
	s_waitcnt vmcnt(0) lgkmcnt(0)
	v_mul_hi_u32 v1, s17, v3
	v_add_u32_e32 v1, v3, v1
	v_lshrrev_b32_e32 v1, s18, v1
	v_mul_lo_u32 v5, v1, s16
	v_mul_hi_u32 v7, s20, v1
	v_sub_u32_e32 v3, v3, v5
	v_add_u32_e32 v5, v1, v7
	v_lshrrev_b32_e32 v5, s21, v5
	v_mul_lo_u32 v8, v5, s19
	v_mul_hi_u32 v9, s23, v5
	v_sub_u32_e32 v1, v1, v8
	v_add_u32_e32 v8, v5, v9
	v_mul_lo_u32 v7, v3, s9
	v_mul_lo_u32 v3, v3, s8
	;; [unrolled: 1-line block ×4, first 2 shown]
	v_lshrrev_b32_e32 v8, s0, v8
	v_add3_u32 v0, v3, v0, v1
	v_mul_hi_u32 v3, s2, v8
	v_add_u32_e32 v3, v8, v3
	v_lshrrev_b32_e32 v3, s3, v3
	s_add_i32 s67, s67, 4
	v_add3_u32 v1, v7, v2, v9
	v_mul_lo_u32 v2, v8, s22
	v_mul_lo_u32 v7, v3, s1
	s_add_u32 s70, s70, 32
	v_sub_u32_e32 v2, v5, v2
	v_sub_u32_e32 v7, v8, v7
	s_addc_u32 s71, s71, 0
	v_mul_lo_u32 v5, v2, s12
	v_mul_lo_u32 v2, v2, s13
	;; [unrolled: 1-line block ×4, first 2 shown]
	s_cmp_eq_u32 s66, s67
	v_add3_u32 v2, v2, v1, v7
	v_add3_u32 v0, v5, v0, v8
	s_cbranch_scc0 .LBB18_558
; %bb.559:
	v_mov_b32_e32 v1, v2
	s_branch .LBB18_562
.LBB18_560:
	s_mov_b64 s[0:1], -1
                                        ; implicit-def: $vgpr2
                                        ; implicit-def: $vgpr0
	s_branch .LBB18_567
.LBB18_561:
	s_mov_b32 s67, s66
	s_waitcnt vmcnt(0)
	v_pk_mov_b32 v[0:1], s[66:67], s[66:67] op_sel:[0,1]
                                        ; implicit-def: $vgpr2
	v_mov_b32_e32 v3, v12
.LBB18_562:
	s_and_b32 s8, s75, 3
	s_cmp_eq_u32 s8, 0
	s_cbranch_scc1 .LBB18_566
; %bb.563:
	s_lshl_b32 s0, s66, 3
	s_add_u32 s0, s0, s34
	s_addc_u32 s1, s35, 0
	s_add_u32 s0, s0, 0xc4
	s_addc_u32 s1, s1, 0
	s_mul_i32 s2, s66, 12
	s_add_u32 s2, s34, s2
	s_addc_u32 s3, s35, 0
.LBB18_564:                             ; =>This Inner Loop Header: Depth=1
	s_load_dwordx2 s[10:11], s[2:3], 0x4
	s_load_dword s9, s[2:3], 0xc
	s_load_dwordx2 s[12:13], s[0:1], 0x0
	v_mov_b32_e32 v2, v1
	s_add_u32 s2, s2, 12
	s_waitcnt lgkmcnt(0)
	v_mul_hi_u32 v1, s11, v3
	v_add_u32_e32 v1, v3, v1
	v_lshrrev_b32_e32 v1, s9, v1
	s_addc_u32 s3, s3, 0
	v_mul_lo_u32 v5, v1, s10
	s_add_u32 s0, s0, 8
	v_sub_u32_e32 v5, v3, v5
	v_mov_b32_e32 v3, v1
	s_addc_u32 s1, s1, 0
	s_add_i32 s8, s8, -1
	v_mad_u64_u32 v[8:9], s[10:11], v5, s13, v[2:3]
	v_mad_u64_u32 v[0:1], s[10:11], v5, s12, v[0:1]
	s_cmp_lg_u32 s8, 0
	v_mov_b32_e32 v1, v8
	s_cbranch_scc1 .LBB18_564
; %bb.565:
	v_mov_b32_e32 v2, v1
.LBB18_566:
	s_mov_b64 s[0:1], 0
.LBB18_567:
	s_andn2_b64 vcc, exec, s[0:1]
	s_cbranch_vccnz .LBB18_570
; %bb.568:
	s_waitcnt lgkmcnt(0)
	v_mul_hi_u32 v0, s37, v12
	v_add_u32_e32 v0, v12, v0
	s_waitcnt vmcnt(0)
	v_lshrrev_b32_e32 v1, s38, v0
	v_mul_lo_u32 v0, v1, s36
	v_sub_u32_e32 v0, v12, v0
	v_mul_lo_u32 v2, v0, s29
	s_andn2_b64 vcc, exec, s[46:47]
	v_mul_lo_u32 v0, v0, s28
	s_cbranch_vccnz .LBB18_570
; %bb.569:
	v_mul_hi_u32 v3, s44, v1
	v_add_u32_e32 v3, v1, v3
	v_lshrrev_b32_e32 v3, s45, v3
	v_mul_lo_u32 v3, v3, s39
	v_sub_u32_e32 v3, v1, v3
	v_mad_u64_u32 v[0:1], s[0:1], v3, s30, v[0:1]
	v_mad_u64_u32 v[2:3], s[0:1], v3, s31, v[2:3]
.LBB18_570:
	s_waitcnt vmcnt(0) lgkmcnt(0)
	v_mov_b32_e32 v1, s27
	v_add_co_u32_e32 v2, vcc, s26, v2
	v_addc_co_u32_e32 v3, vcc, 0, v1, vcc
	v_cmp_gt_i16_e32 vcc, 11, v4
	s_cbranch_vccnz .LBB18_577
; %bb.571:
	v_cmp_lt_i16_e32 vcc, 25, v4
	s_cbranch_vccz .LBB18_578
; %bb.572:
	v_cmp_lt_i16_e32 vcc, 28, v4
	s_cbranch_vccz .LBB18_579
	;; [unrolled: 3-line block ×4, first 2 shown]
; %bb.575:
	v_cmp_eq_u16_e32 vcc, 46, v4
	s_mov_b64 s[8:9], 0
	s_cbranch_vccz .LBB18_586
; %bb.576:
	global_load_dword v1, v[2:3], off
	s_mov_b64 s[0:1], -1
	s_mov_b64 s[2:3], 0
	s_waitcnt vmcnt(0)
	v_lshlrev_b32_e32 v1, 16, v1
	s_branch .LBB18_587
.LBB18_577:
	s_mov_b64 s[8:9], -1
	s_mov_b64 s[0:1], 0
                                        ; implicit-def: $vgpr1
	s_mov_b64 s[2:3], s[58:59]
	s_branch .LBB18_652
.LBB18_578:
	s_mov_b64 s[8:9], -1
	s_mov_b64 s[0:1], 0
	s_mov_b64 s[2:3], s[58:59]
                                        ; implicit-def: $vgpr1
	s_branch .LBB18_616
.LBB18_579:
	s_mov_b64 s[8:9], -1
	s_mov_b64 s[0:1], 0
	s_mov_b64 s[2:3], s[58:59]
                                        ; implicit-def: $vgpr1
	s_branch .LBB18_597
.LBB18_580:
	s_mov_b64 s[8:9], -1
	s_mov_b64 s[0:1], 0
	s_mov_b64 s[2:3], s[58:59]
                                        ; implicit-def: $vgpr1
	s_branch .LBB18_592
.LBB18_581:
	s_or_saveexec_b64 s[12:13], s[12:13]
                                        ; implicit-def: $sgpr14
	s_xor_b64 exec, exec, s[12:13]
	s_cbranch_execz .LBB18_349
.LBB18_582:
	s_mov_b32 s14, 0x46000000
	v_add_f32_e64 v3, |v2|, s14
	v_and_b32_e32 v3, 0xff, v3
	v_cmp_ne_u32_e32 vcc, 0, v3
	s_andn2_b64 s[10:11], s[10:11], exec
	s_and_b64 s[16:17], vcc, exec
	s_mov_b32 s14, 0
	s_or_b64 s[10:11], s[10:11], s[16:17]
	s_or_b64 exec, exec, s[12:13]
	v_mov_b32_e32 v5, s14
	s_and_saveexec_b64 s[12:13], s[10:11]
	s_cbranch_execnz .LBB18_350
	s_branch .LBB18_351
.LBB18_583:
	s_mov_b64 s[8:9], -1
	s_mov_b64 s[0:1], 0
	s_mov_b64 s[2:3], s[58:59]
                                        ; implicit-def: $vgpr1
	s_branch .LBB18_587
.LBB18_584:
	s_or_saveexec_b64 s[12:13], s[12:13]
                                        ; implicit-def: $sgpr14
	s_xor_b64 exec, exec, s[12:13]
	s_cbranch_execz .LBB18_362
.LBB18_585:
	s_mov_b32 s14, 0x42800000
	v_add_f32_e64 v3, |v2|, s14
	v_and_b32_e32 v3, 0xff, v3
	v_cmp_ne_u32_e32 vcc, 0, v3
	s_andn2_b64 s[10:11], s[10:11], exec
	s_and_b64 s[16:17], vcc, exec
	s_mov_b32 s14, 0
	s_or_b64 s[10:11], s[10:11], s[16:17]
	s_or_b64 exec, exec, s[12:13]
	v_mov_b32_e32 v5, s14
	s_and_saveexec_b64 s[12:13], s[10:11]
	s_cbranch_execnz .LBB18_363
	s_branch .LBB18_364
.LBB18_586:
	s_mov_b64 s[2:3], -1
                                        ; implicit-def: $vgpr1
	s_mov_b64 s[0:1], 0
.LBB18_587:
	s_and_b64 vcc, exec, s[8:9]
	s_cbranch_vccz .LBB18_591
; %bb.588:
	v_cmp_eq_u16_e32 vcc, 44, v4
	s_cbranch_vccz .LBB18_590
; %bb.589:
	global_load_ubyte v1, v[2:3], off
	s_movk_i32 s2, 0xff
	v_mov_b32_e32 v5, 0x7f800001
	v_mov_b32_e32 v7, 0x400000
	s_mov_b64 s[0:1], -1
	s_waitcnt vmcnt(0)
	v_lshlrev_b32_e32 v8, 23, v1
	v_cmp_ne_u32_e32 vcc, s2, v1
	v_cndmask_b32_e32 v5, v5, v8, vcc
	v_cmp_ne_u32_e32 vcc, 0, v1
	v_cndmask_b32_e32 v1, v7, v5, vcc
	s_mov_b64 s[2:3], 0
	s_branch .LBB18_591
.LBB18_590:
	s_mov_b64 s[2:3], -1
                                        ; implicit-def: $vgpr1
.LBB18_591:
	s_mov_b64 s[8:9], 0
.LBB18_592:
	s_and_b64 vcc, exec, s[8:9]
	s_cbranch_vccz .LBB18_596
; %bb.593:
	v_cmp_eq_u16_e32 vcc, 29, v4
	s_cbranch_vccz .LBB18_595
; %bb.594:
	global_load_dwordx2 v[8:9], v[2:3], off
	s_mov_b64 s[0:1], -1
	s_mov_b64 s[2:3], 0
	s_mov_b64 s[8:9], 0
	s_waitcnt vmcnt(0)
	v_ffbh_u32_e32 v1, v9
	v_min_u32_e32 v1, 32, v1
	v_lshlrev_b64 v[8:9], v1, v[8:9]
	v_min_u32_e32 v5, 1, v8
	v_or_b32_e32 v5, v9, v5
	v_cvt_f32_u32_e32 v5, v5
	v_sub_u32_e32 v1, 32, v1
	v_ldexp_f32 v1, v5, v1
	s_branch .LBB18_597
.LBB18_595:
	s_mov_b64 s[2:3], -1
                                        ; implicit-def: $vgpr1
.LBB18_596:
	s_mov_b64 s[8:9], 0
.LBB18_597:
	s_and_b64 vcc, exec, s[8:9]
	s_cbranch_vccz .LBB18_615
; %bb.598:
	v_cmp_gt_i16_e32 vcc, 27, v4
	s_cbranch_vccnz .LBB18_601
; %bb.599:
	v_cmp_lt_i16_e32 vcc, 27, v4
	s_cbranch_vccz .LBB18_602
; %bb.600:
	global_load_dword v1, v[2:3], off
	s_mov_b64 s[0:1], 0
	s_waitcnt vmcnt(0)
	v_cvt_f32_u32_e32 v1, v1
	s_branch .LBB18_603
.LBB18_601:
	s_mov_b64 s[0:1], -1
                                        ; implicit-def: $vgpr1
	s_branch .LBB18_606
.LBB18_602:
	s_mov_b64 s[0:1], -1
                                        ; implicit-def: $vgpr1
.LBB18_603:
	s_andn2_b64 vcc, exec, s[0:1]
	s_cbranch_vccnz .LBB18_605
; %bb.604:
	global_load_ushort v1, v[2:3], off
	s_waitcnt vmcnt(0)
	v_cvt_f32_u32_e32 v1, v1
.LBB18_605:
	s_mov_b64 s[0:1], 0
.LBB18_606:
	s_andn2_b64 vcc, exec, s[0:1]
	s_cbranch_vccnz .LBB18_614
; %bb.607:
	global_load_ubyte v5, v[2:3], off
	s_movk_i32 s0, 0x7f
                                        ; implicit-def: $sgpr12
	s_waitcnt vmcnt(0)
	v_cmp_lt_i16_e32 vcc, s0, v5
	s_mov_b64 s[0:1], 0
	s_and_saveexec_b64 s[8:9], vcc
	s_xor_b64 s[8:9], exec, s[8:9]
	s_cbranch_execz .LBB18_628
; %bb.608:
	s_movk_i32 s0, 0x80
	v_cmp_eq_u16_e32 vcc, s0, v5
	s_mov_b64 s[0:1], -1
                                        ; implicit-def: $sgpr12
	s_and_saveexec_b64 s[10:11], vcc
; %bb.609:
	s_mov_b32 s12, 0x7f800001
	s_xor_b64 s[0:1], exec, -1
; %bb.610:
	s_or_b64 exec, exec, s[10:11]
	s_and_b64 s[0:1], s[0:1], exec
	s_or_saveexec_b64 s[8:9], s[8:9]
	v_mov_b32_e32 v1, s12
	s_xor_b64 exec, exec, s[8:9]
	s_cbranch_execnz .LBB18_629
.LBB18_611:
	s_or_b64 exec, exec, s[8:9]
	s_and_saveexec_b64 s[8:9], s[0:1]
	s_cbranch_execz .LBB18_613
.LBB18_612:
	v_lshlrev_b32_e32 v1, 24, v5
	v_and_b32_e32 v5, 0xffff, v5
	v_and_b32_e32 v7, 7, v5
	v_ffbh_u32_e32 v9, v7
	v_min_u32_e32 v9, 32, v9
	v_subrev_u32_e32 v10, 28, v9
	v_bfe_u32 v8, v5, 3, 4
	v_lshlrev_b32_e32 v5, v10, v5
	v_sub_u32_e32 v9, 29, v9
	v_and_b32_e32 v5, 7, v5
	v_cmp_eq_u32_e32 vcc, 0, v8
	v_cndmask_b32_e32 v8, v8, v9, vcc
	v_cndmask_b32_e32 v5, v7, v5, vcc
	v_mov_b32_e32 v7, 0x3b800000
	v_lshlrev_b32_e32 v5, 20, v5
	v_and_b32_e32 v1, 0x80000000, v1
	v_lshl_add_u32 v7, v8, 23, v7
	v_or3_b32 v1, v1, v7, v5
.LBB18_613:
	s_or_b64 exec, exec, s[8:9]
.LBB18_614:
	s_mov_b64 s[0:1], -1
.LBB18_615:
	s_mov_b64 s[8:9], 0
.LBB18_616:
	s_and_b64 vcc, exec, s[8:9]
	s_cbranch_vccz .LBB18_651
; %bb.617:
	v_cmp_lt_i16_e32 vcc, 22, v4
	s_cbranch_vccz .LBB18_627
; %bb.618:
	v_cmp_gt_i16_e32 vcc, 24, v4
	s_cbranch_vccnz .LBB18_630
; %bb.619:
	v_cmp_lt_i16_e32 vcc, 24, v4
	s_cbranch_vccz .LBB18_631
; %bb.620:
	global_load_ubyte v5, v[2:3], off
	s_movk_i32 s0, 0x7f
                                        ; implicit-def: $sgpr12
	s_waitcnt vmcnt(0)
	v_cmp_lt_i16_e32 vcc, s0, v5
	s_mov_b64 s[0:1], 0
	s_and_saveexec_b64 s[8:9], vcc
	s_xor_b64 s[8:9], exec, s[8:9]
	s_cbranch_execz .LBB18_643
; %bb.621:
	s_movk_i32 s0, 0x80
	v_cmp_eq_u16_e32 vcc, s0, v5
	s_mov_b64 s[0:1], -1
                                        ; implicit-def: $sgpr12
	s_and_saveexec_b64 s[10:11], vcc
; %bb.622:
	s_mov_b32 s12, 0x7f800001
	s_xor_b64 s[0:1], exec, -1
; %bb.623:
	s_or_b64 exec, exec, s[10:11]
	s_and_b64 s[0:1], s[0:1], exec
	s_or_saveexec_b64 s[8:9], s[8:9]
	v_mov_b32_e32 v1, s12
	s_xor_b64 exec, exec, s[8:9]
	s_cbranch_execnz .LBB18_644
.LBB18_624:
	s_or_b64 exec, exec, s[8:9]
	s_and_saveexec_b64 s[8:9], s[0:1]
	s_cbranch_execz .LBB18_626
.LBB18_625:
	v_lshlrev_b32_e32 v1, 24, v5
	v_and_b32_e32 v5, 0xffff, v5
	v_and_b32_e32 v7, 3, v5
	v_ffbh_u32_e32 v9, v7
	v_min_u32_e32 v9, 32, v9
	v_subrev_u32_e32 v10, 29, v9
	v_bfe_u32 v8, v5, 2, 5
	v_lshlrev_b32_e32 v5, v10, v5
	v_sub_u32_e32 v9, 30, v9
	v_and_b32_e32 v5, 3, v5
	v_cmp_eq_u32_e32 vcc, 0, v8
	v_cndmask_b32_e32 v8, v8, v9, vcc
	v_cndmask_b32_e32 v5, v7, v5, vcc
	v_mov_b32_e32 v7, 0x37800000
	v_lshlrev_b32_e32 v5, 21, v5
	v_and_b32_e32 v1, 0x80000000, v1
	v_lshl_add_u32 v7, v8, 23, v7
	v_or3_b32 v1, v1, v7, v5
.LBB18_626:
	s_or_b64 exec, exec, s[8:9]
	s_mov_b64 s[0:1], 0
	s_branch .LBB18_632
.LBB18_627:
	s_mov_b64 s[8:9], -1
                                        ; implicit-def: $vgpr1
	s_branch .LBB18_638
.LBB18_628:
	s_or_saveexec_b64 s[8:9], s[8:9]
	v_mov_b32_e32 v1, s12
	s_xor_b64 exec, exec, s[8:9]
	s_cbranch_execz .LBB18_611
.LBB18_629:
	v_cmp_ne_u16_e32 vcc, 0, v5
	s_andn2_b64 s[0:1], s[0:1], exec
	s_and_b64 s[10:11], vcc, exec
	v_mov_b32_e32 v1, 0
	s_or_b64 s[0:1], s[0:1], s[10:11]
	s_or_b64 exec, exec, s[8:9]
	s_and_saveexec_b64 s[8:9], s[0:1]
	s_cbranch_execnz .LBB18_612
	s_branch .LBB18_613
.LBB18_630:
	s_mov_b64 s[0:1], -1
                                        ; implicit-def: $vgpr1
	s_branch .LBB18_635
.LBB18_631:
	s_mov_b64 s[0:1], -1
                                        ; implicit-def: $vgpr1
.LBB18_632:
	s_and_b64 vcc, exec, s[0:1]
	s_cbranch_vccz .LBB18_634
; %bb.633:
	global_load_ubyte v1, v[2:3], off
	s_mov_b32 s0, 0x7f800000
	s_waitcnt vmcnt(0)
	v_lshlrev_b32_e32 v1, 24, v1
	v_and_b32_e32 v5, 0x7f000000, v1
	v_ffbh_u32_e32 v7, v5
	v_min_u32_e32 v7, 32, v7
	v_sub_u32_e64 v7, v7, 4 clamp
	v_lshlrev_b32_e32 v9, v7, v5
	v_lshlrev_b32_e32 v7, 23, v7
	v_lshrrev_b32_e32 v9, 4, v9
	v_add_u32_e32 v8, 0x1000000, v5
	v_sub_u32_e32 v7, v9, v7
	v_ashrrev_i32_e32 v8, 8, v8
	v_add_u32_e32 v7, 0x3c000000, v7
	v_and_or_b32 v7, v8, s0, v7
	v_cmp_ne_u32_e32 vcc, 0, v5
	v_cndmask_b32_e32 v5, 0, v7, vcc
	s_brev_b32 s0, 1
	v_and_or_b32 v1, v1, s0, v5
.LBB18_634:
	s_mov_b64 s[0:1], 0
.LBB18_635:
	s_andn2_b64 vcc, exec, s[0:1]
	s_cbranch_vccnz .LBB18_637
; %bb.636:
	global_load_ubyte v1, v[2:3], off
	s_movk_i32 s0, 0x7f00
	s_brev_b32 s1, 16
	s_waitcnt vmcnt(0)
	v_lshlrev_b16_e32 v5, 8, v1
	v_lshlrev_b32_e32 v1, 25, v1
	v_lshrrev_b32_e32 v7, 4, v1
	v_and_or_b32 v8, v5, s0, 0.5
	v_or_b32_e32 v7, 0x70000000, v7
	v_add_f32_e32 v8, -0.5, v8
	v_mul_f32_e32 v7, 0x7800000, v7
	v_cmp_gt_u32_e32 vcc, s1, v1
	v_bfe_i32 v5, v5, 0, 16
	v_cndmask_b32_e32 v1, v7, v8, vcc
	s_brev_b32 s0, 1
	v_and_or_b32 v1, v5, s0, v1
.LBB18_637:
	s_mov_b64 s[8:9], 0
	s_mov_b64 s[0:1], -1
.LBB18_638:
	s_andn2_b64 vcc, exec, s[8:9]
	s_cbranch_vccnz .LBB18_651
; %bb.639:
	v_cmp_lt_i16_e32 vcc, 14, v4
	s_cbranch_vccz .LBB18_642
; %bb.640:
	v_cmp_eq_u16_e32 vcc, 15, v4
	s_cbranch_vccz .LBB18_645
; %bb.641:
	global_load_ushort v1, v[2:3], off
	s_mov_b64 s[0:1], -1
	s_mov_b64 s[2:3], 0
	s_waitcnt vmcnt(0)
	v_lshlrev_b32_e32 v1, 16, v1
	s_branch .LBB18_646
.LBB18_642:
	s_mov_b64 s[8:9], -1
                                        ; implicit-def: $vgpr1
	s_branch .LBB18_647
.LBB18_643:
	s_or_saveexec_b64 s[8:9], s[8:9]
	v_mov_b32_e32 v1, s12
	s_xor_b64 exec, exec, s[8:9]
	s_cbranch_execz .LBB18_624
.LBB18_644:
	v_cmp_ne_u16_e32 vcc, 0, v5
	s_andn2_b64 s[0:1], s[0:1], exec
	s_and_b64 s[10:11], vcc, exec
	v_mov_b32_e32 v1, 0
	s_or_b64 s[0:1], s[0:1], s[10:11]
	s_or_b64 exec, exec, s[8:9]
	s_and_saveexec_b64 s[8:9], s[0:1]
	s_cbranch_execnz .LBB18_625
	s_branch .LBB18_626
.LBB18_645:
	s_mov_b64 s[2:3], -1
                                        ; implicit-def: $vgpr1
.LBB18_646:
	s_mov_b64 s[8:9], 0
.LBB18_647:
	s_and_b64 vcc, exec, s[8:9]
	s_cbranch_vccz .LBB18_651
; %bb.648:
	v_cmp_eq_u16_e32 vcc, 11, v4
	s_cbranch_vccz .LBB18_650
; %bb.649:
	global_load_ubyte v1, v[2:3], off
	s_mov_b64 s[0:1], -1
	s_mov_b64 s[2:3], 0
	s_waitcnt vmcnt(0)
	v_cmp_ne_u16_e32 vcc, 0, v1
	v_cndmask_b32_e64 v1, 0, 1.0, vcc
	s_branch .LBB18_651
.LBB18_650:
	s_mov_b64 s[2:3], -1
                                        ; implicit-def: $vgpr1
.LBB18_651:
	s_mov_b64 s[8:9], 0
.LBB18_652:
	s_and_b64 vcc, exec, s[8:9]
	s_cbranch_vccz .LBB18_701
; %bb.653:
	v_cmp_gt_i16_e32 vcc, 5, v4
	s_cbranch_vccnz .LBB18_658
; %bb.654:
	v_cmp_gt_i16_e32 vcc, 8, v4
	s_cbranch_vccnz .LBB18_659
	;; [unrolled: 3-line block ×3, first 2 shown]
; %bb.656:
	v_cmp_lt_i16_e32 vcc, 9, v4
	s_cbranch_vccz .LBB18_661
; %bb.657:
	global_load_dwordx2 v[8:9], v[2:3], off
	s_mov_b64 s[0:1], 0
	s_waitcnt vmcnt(0)
	v_cvt_f32_f64_e32 v1, v[8:9]
	s_branch .LBB18_662
.LBB18_658:
	s_mov_b64 s[0:1], -1
                                        ; implicit-def: $vgpr1
	s_branch .LBB18_680
.LBB18_659:
	s_mov_b64 s[0:1], -1
                                        ; implicit-def: $vgpr1
	s_branch .LBB18_668
.LBB18_660:
	s_mov_b64 s[0:1], -1
                                        ; implicit-def: $vgpr1
	s_branch .LBB18_665
.LBB18_661:
	s_mov_b64 s[0:1], -1
                                        ; implicit-def: $vgpr1
.LBB18_662:
	s_andn2_b64 vcc, exec, s[0:1]
	s_cbranch_vccnz .LBB18_664
; %bb.663:
	global_load_dword v1, v[2:3], off
.LBB18_664:
	s_mov_b64 s[0:1], 0
.LBB18_665:
	s_andn2_b64 vcc, exec, s[0:1]
	s_cbranch_vccnz .LBB18_667
; %bb.666:
	global_load_dword v1, v[2:3], off
	s_waitcnt vmcnt(0)
	v_cvt_f32_f16_e32 v1, v1
.LBB18_667:
	s_mov_b64 s[0:1], 0
.LBB18_668:
	s_andn2_b64 vcc, exec, s[0:1]
	s_cbranch_vccnz .LBB18_679
; %bb.669:
	v_cmp_gt_i16_e32 vcc, 6, v4
	s_cbranch_vccnz .LBB18_672
; %bb.670:
	v_cmp_lt_i16_e32 vcc, 6, v4
	s_cbranch_vccz .LBB18_673
; %bb.671:
	global_load_dwordx2 v[8:9], v[2:3], off
	s_mov_b64 s[0:1], 0
	s_waitcnt vmcnt(0)
	v_cvt_f32_f64_e32 v1, v[8:9]
	s_branch .LBB18_674
.LBB18_672:
	s_mov_b64 s[0:1], -1
                                        ; implicit-def: $vgpr1
	s_branch .LBB18_677
.LBB18_673:
	s_mov_b64 s[0:1], -1
                                        ; implicit-def: $vgpr1
.LBB18_674:
	s_andn2_b64 vcc, exec, s[0:1]
	s_cbranch_vccnz .LBB18_676
; %bb.675:
	global_load_dword v1, v[2:3], off
.LBB18_676:
	s_mov_b64 s[0:1], 0
.LBB18_677:
	s_andn2_b64 vcc, exec, s[0:1]
	s_cbranch_vccnz .LBB18_679
; %bb.678:
	global_load_ushort v1, v[2:3], off
	s_waitcnt vmcnt(0)
	v_cvt_f32_f16_e32 v1, v1
.LBB18_679:
	s_mov_b64 s[0:1], 0
.LBB18_680:
	s_andn2_b64 vcc, exec, s[0:1]
	s_cbranch_vccnz .LBB18_700
; %bb.681:
	v_cmp_gt_i16_e32 vcc, 2, v4
	s_cbranch_vccnz .LBB18_685
; %bb.682:
	v_cmp_gt_i16_e32 vcc, 3, v4
	s_cbranch_vccnz .LBB18_686
; %bb.683:
	v_cmp_lt_i16_e32 vcc, 3, v4
	s_cbranch_vccz .LBB18_687
; %bb.684:
	global_load_dwordx2 v[8:9], v[2:3], off
	s_mov_b64 s[0:1], 0
	s_waitcnt vmcnt(0)
	v_xor_b32_e32 v5, v8, v9
	v_ffbh_i32_e32 v1, v9
	v_ashrrev_i32_e32 v5, 31, v5
	v_add_u32_e32 v1, -1, v1
	v_add_u32_e32 v5, 32, v5
	v_min_u32_e32 v1, v1, v5
	v_lshlrev_b64 v[8:9], v1, v[8:9]
	v_min_u32_e32 v5, 1, v8
	v_or_b32_e32 v5, v9, v5
	v_cvt_f32_i32_e32 v5, v5
	v_sub_u32_e32 v1, 32, v1
	v_ldexp_f32 v1, v5, v1
	s_branch .LBB18_688
.LBB18_685:
	s_mov_b64 s[0:1], -1
                                        ; implicit-def: $vgpr1
	s_branch .LBB18_694
.LBB18_686:
	s_mov_b64 s[0:1], -1
                                        ; implicit-def: $vgpr1
	s_branch .LBB18_691
.LBB18_687:
	s_mov_b64 s[0:1], -1
                                        ; implicit-def: $vgpr1
.LBB18_688:
	s_andn2_b64 vcc, exec, s[0:1]
	s_cbranch_vccnz .LBB18_690
; %bb.689:
	global_load_dword v1, v[2:3], off
	s_waitcnt vmcnt(0)
	v_cvt_f32_i32_e32 v1, v1
.LBB18_690:
	s_mov_b64 s[0:1], 0
.LBB18_691:
	s_andn2_b64 vcc, exec, s[0:1]
	s_cbranch_vccnz .LBB18_693
; %bb.692:
	global_load_sshort v1, v[2:3], off
	s_waitcnt vmcnt(0)
	v_cvt_f32_i32_e32 v1, v1
.LBB18_693:
	s_mov_b64 s[0:1], 0
.LBB18_694:
	s_andn2_b64 vcc, exec, s[0:1]
	s_cbranch_vccnz .LBB18_700
; %bb.695:
	v_cmp_lt_i16_e32 vcc, 0, v4
	s_cbranch_vccz .LBB18_697
; %bb.696:
	global_load_sbyte v1, v[2:3], off
	s_mov_b64 s[0:1], 0
	s_waitcnt vmcnt(0)
	v_cvt_f32_i32_e32 v1, v1
	s_branch .LBB18_698
.LBB18_697:
	s_mov_b64 s[0:1], -1
                                        ; implicit-def: $vgpr1
.LBB18_698:
	s_andn2_b64 vcc, exec, s[0:1]
	s_cbranch_vccnz .LBB18_700
; %bb.699:
	global_load_ubyte v1, v[2:3], off
	s_waitcnt vmcnt(0)
	v_cvt_f32_ubyte0_e32 v1, v1
.LBB18_700:
	s_mov_b64 s[0:1], -1
.LBB18_701:
	s_andn2_b64 vcc, exec, s[0:1]
	s_cbranch_vccnz .LBB18_713
; %bb.702:
	s_mov_b32 s0, 0x41000000
	s_waitcnt vmcnt(0)
	v_cmp_le_f32_e64 s[0:1], |v1|, s0
                                        ; implicit-def: $vgpr2
	s_and_saveexec_b64 s[8:9], s[0:1]
	s_xor_b64 s[0:1], exec, s[8:9]
	s_cbranch_execz .LBB18_704
; %bb.703:
	v_fma_f32 v2, |v1|, 0.5, -2.0
	v_mov_b32_e32 v3, 0x24199b15
	v_fmac_f32_e32 v3, 0xa2a2e5b9, v2
	v_mov_b32_e32 v5, 0x22a2e5b9
	v_fmac_f32_e32 v5, v2, v3
	v_add_f32_e32 v5, 0xa58c275c, v5
	v_fma_f32 v3, v2, v5, -v3
	v_add_f32_e32 v3, 0x26f736c5, v3
	v_fma_f32 v5, v2, v3, -v5
	;; [unrolled: 2-line block ×22, first 2 shown]
	v_add_f32_e32 v5, 0xbcc274f8, v5
	s_mov_b32 s8, 0x3fb8aa3b
	v_fma_f32 v3, v2, v5, -v3
	v_mul_f32_e64 v7, |v1|, s8
	v_add_f32_e32 v3, 0x3d49f456, v3
	v_rndne_f32_e32 v8, v7
	v_fma_f32 v5, v2, v3, -v5
	v_sub_f32_e32 v9, v7, v8
	v_fma_f32 v7, |v1|, s8, -v7
	s_mov_b32 s8, 0x32a5705f
	v_add_f32_e32 v5, 0xbdc25b82, v5
	v_fma_f32 v7, |v1|, s8, v7
	v_fma_f32 v3, v2, v5, -v3
	v_add_f32_e32 v7, v9, v7
	v_add_f32_e32 v3, 0x3e2fbd64, v3
	v_exp_f32_e32 v7, v7
	v_cvt_i32_f32_e32 v8, v8
	v_fma_f32 v5, v2, v3, -v5
	v_add_f32_e32 v5, 0xbe9bff5e, v5
	v_fma_f32 v2, v2, v5, -v3
	s_mov_b32 s8, 0xc2ce8ed0
	v_add_f32_e32 v2, 0x3f2d4275, v2
	v_ldexp_f32 v5, v7, v8
	v_cmp_nlt_f32_e64 vcc, |v1|, s8
	s_mov_b32 s8, 0x42b17218
	v_cndmask_b32_e32 v5, 0, v5, vcc
	v_mov_b32_e32 v7, 0x7f800000
	v_cmp_ngt_f32_e64 vcc, |v1|, s8
	v_sub_f32_e32 v2, v2, v3
	v_cndmask_b32_e32 v1, v7, v5, vcc
	v_mul_f32_e32 v2, 0.5, v2
	v_mul_f32_e32 v2, v1, v2
                                        ; implicit-def: $vgpr1
.LBB18_704:
	s_andn2_saveexec_b64 s[8:9], s[0:1]
	s_cbranch_execz .LBB18_706
; %bb.705:
	v_and_b32_e32 v2, 0x7fffffff, v1
	s_mov_b32 s10, 0x42000000
	v_div_scale_f32 v3, s[0:1], v2, v2, s10
	v_rcp_f32_e32 v5, v3
	v_div_scale_f32 v2, vcc, s10, v2, s10
	s_mov_b32 s0, 0x3fb8aa3b
	v_fma_f32 v7, -v3, v5, 1.0
	v_fmac_f32_e32 v5, v7, v5
	v_mul_f32_e32 v7, v2, v5
	v_fma_f32 v8, -v3, v7, v2
	v_fmac_f32_e32 v7, v8, v5
	v_fma_f32 v2, -v3, v7, v2
	v_div_fmas_f32 v2, v2, v5, v7
	v_div_fixup_f32 v2, v2, |v1|, s10
	v_add_f32_e32 v2, -2.0, v2
	v_mov_b32_e32 v3, 0xa2b236d3
	v_fmac_f32_e32 v3, 0xa3056dbb, v2
	v_mov_b32_e32 v5, 0x23056dbb
	v_fmac_f32_e32 v5, v2, v3
	v_add_f32_e32 v5, 0x244df0c1, v5
	v_fma_f32 v3, v2, v5, -v3
	v_add_f32_e32 v3, 0x241f9ee8, v3
	v_fma_f32 v5, v2, v3, -v5
	;; [unrolled: 2-line block ×17, first 2 shown]
	v_add_f32_e32 v3, 0x32c2b494, v3
	v_mul_f32_e64 v7, |v1|, s0
	v_fma_f32 v5, v2, v3, -v5
	v_rndne_f32_e32 v8, v7
	v_add_f32_e32 v5, 0x345c003f, v5
	v_sub_f32_e32 v9, v7, v8
	v_fma_f32 v7, |v1|, s0, -v7
	s_mov_b32 s0, 0x32a5705f
	v_fma_f32 v3, v2, v5, -v3
	v_fma_f32 v7, |v1|, s0, v7
	v_add_f32_e32 v3, 0x3642095e, v3
	v_add_f32_e32 v7, v9, v7
	v_fma_f32 v5, v2, v3, -v5
	v_exp_f32_e32 v7, v7
	v_cvt_i32_f32_e32 v8, v8
	v_add_f32_e32 v5, 0x38907d1c, v5
	v_fma_f32 v3, v2, v5, -v3
	v_add_f32_e32 v3, 0x3b5ccc65, v3
	s_mov_b32 s0, 0xc2ce8ed0
	v_fma_f32 v2, v2, v3, -v5
	v_ldexp_f32 v3, v7, v8
	v_cmp_nlt_f32_e64 vcc, |v1|, s0
	s_mov_b32 s0, 0x42b17218
	v_cndmask_b32_e32 v3, 0, v3, vcc
	v_mov_b32_e32 v7, 0x7f800000
	v_cmp_ngt_f32_e64 vcc, |v1|, s0
	s_mov_b32 s0, 0xf800000
	s_mov_b32 s1, 0x4f800000
	v_cndmask_b32_e32 v3, v7, v3, vcc
	v_mul_f32_e64 v7, |v1|, s1
	v_cmp_lt_f32_e64 vcc, |v1|, s0
	v_cndmask_b32_e64 v1, |v1|, v7, vcc
	v_sqrt_f32_e32 v7, v1
	v_add_f32_e32 v2, 0x3f4df315, v2
	v_sub_f32_e32 v2, v2, v5
	v_mul_f32_e32 v2, 0.5, v2
	v_mul_f32_e32 v2, v3, v2
	v_add_u32_e32 v3, -1, v7
	v_fma_f32 v5, -v3, v7, v1
	v_cmp_ge_f32_e64 s[0:1], 0, v5
	v_add_u32_e32 v5, 1, v7
	v_cndmask_b32_e64 v3, v7, v3, s[0:1]
	v_fma_f32 v7, -v5, v7, v1
	v_cmp_lt_f32_e64 s[0:1], 0, v7
	v_cndmask_b32_e64 v3, v3, v5, s[0:1]
	v_mul_f32_e32 v5, 0x37800000, v3
	v_cndmask_b32_e32 v3, v3, v5, vcc
	v_mov_b32_e32 v5, 0x260
	v_cmp_class_f32_e32 vcc, v1, v5
	v_cndmask_b32_e32 v1, v3, v1, vcc
	v_div_scale_f32 v3, s[0:1], v1, v1, v2
	v_rcp_f32_e32 v5, v3
	v_fma_f32 v7, -v3, v5, 1.0
	v_fmac_f32_e32 v5, v7, v5
	v_div_scale_f32 v7, vcc, v2, v1, v2
	v_mul_f32_e32 v8, v7, v5
	v_fma_f32 v9, -v3, v8, v7
	v_fmac_f32_e32 v8, v9, v5
	v_fma_f32 v3, -v3, v8, v7
	v_div_fmas_f32 v3, v3, v5, v8
	v_div_fixup_f32 v2, v3, v1, v2
.LBB18_706:
	s_or_b64 exec, exec, s[8:9]
	v_mov_b32_e32 v1, s25
	v_add_co_u32_e32 v0, vcc, s24, v0
	v_mov_b32_e32 v3, 11
	v_addc_co_u32_e32 v1, vcc, 0, v1, vcc
	v_cmp_lt_i16_sdwa s[0:1], v6, v3 src0_sel:BYTE_0 src1_sel:DWORD
	s_and_b64 vcc, exec, s[0:1]
	s_cbranch_vccnz .LBB18_714
; %bb.707:
	v_mov_b32_e32 v3, 25
	v_cmp_gt_i16_sdwa s[0:1], v6, v3 src0_sel:BYTE_0 src1_sel:DWORD
	s_and_b64 vcc, exec, s[0:1]
	s_cbranch_vccz .LBB18_715
; %bb.708:
	v_mov_b32_e32 v3, 28
	v_cmp_gt_i16_sdwa s[0:1], v6, v3 src0_sel:BYTE_0 src1_sel:DWORD
	s_and_b64 vcc, exec, s[0:1]
	s_cbranch_vccz .LBB18_716
	;; [unrolled: 5-line block ×4, first 2 shown]
; %bb.711:
	v_mov_b32_e32 v3, 46
	v_cmp_eq_u16_sdwa s[8:9], v6, v3 src0_sel:BYTE_0 src1_sel:DWORD
	s_mov_b64 s[10:11], 0
	s_mov_b64 s[0:1], -1
	s_and_b64 vcc, exec, s[8:9]
	s_mov_b64 s[8:9], 0
	s_cbranch_vccz .LBB18_719
; %bb.712:
	v_bfe_u32 v3, v2, 16, 1
	s_movk_i32 s0, 0x7fff
	v_add3_u32 v3, v2, v3, s0
	v_lshrrev_b32_e32 v3, 16, v3
	v_mov_b32_e32 v5, 0x7fc0
	v_cmp_o_f32_e32 vcc, v2, v2
	v_cndmask_b32_e32 v3, v5, v3, vcc
	global_store_dword v[0:1], v3, off
	s_mov_b64 s[8:9], -1
	s_mov_b64 s[0:1], 0
	s_branch .LBB18_719
.LBB18_713:
	s_mov_b64 s[8:9], 0
	s_mov_b64 s[0:1], s[60:61]
	s_branch .LBB18_830
.LBB18_714:
	s_mov_b64 s[10:11], -1
	s_mov_b64 s[8:9], 0
	s_mov_b64 s[0:1], s[60:61]
	s_branch .LBB18_788
.LBB18_715:
	s_mov_b64 s[10:11], -1
	s_mov_b64 s[8:9], 0
	s_mov_b64 s[0:1], s[60:61]
	s_branch .LBB18_746
.LBB18_716:
	s_mov_b64 s[10:11], -1
	s_mov_b64 s[8:9], 0
	s_mov_b64 s[0:1], s[60:61]
	s_branch .LBB18_729
.LBB18_717:
	s_mov_b64 s[10:11], -1
	s_mov_b64 s[8:9], 0
	s_mov_b64 s[0:1], s[60:61]
	s_branch .LBB18_725
.LBB18_718:
	s_mov_b64 s[10:11], -1
	s_mov_b64 s[8:9], 0
	s_mov_b64 s[0:1], s[60:61]
.LBB18_719:
	s_and_b64 vcc, exec, s[10:11]
	s_cbranch_vccz .LBB18_724
; %bb.720:
	v_mov_b32_e32 v3, 44
	v_cmp_eq_u16_sdwa s[10:11], v6, v3 src0_sel:BYTE_0 src1_sel:DWORD
	s_mov_b64 s[0:1], -1
	s_and_b64 vcc, exec, s[10:11]
	s_cbranch_vccz .LBB18_724
; %bb.721:
	v_bfe_u32 v3, v2, 23, 8
	s_movk_i32 s0, 0xff
	v_cmp_ne_u32_e32 vcc, s0, v3
	v_mov_b32_e32 v5, 0xff
	s_and_saveexec_b64 s[8:9], vcc
; %bb.722:
	s_mov_b32 s0, 0x3fffff
	v_and_b32_e32 v7, 0x400000, v2
	v_and_or_b32 v3, v2, s0, v3
	v_cmp_ne_u32_e32 vcc, 0, v7
	v_cmp_ne_u32_e64 s[0:1], 0, v3
	s_and_b64 s[0:1], vcc, s[0:1]
	v_lshrrev_b32_e32 v5, 23, v2
	v_cndmask_b32_e64 v3, 0, 1, s[0:1]
	v_add_u32_e32 v5, v5, v3
; %bb.723:
	s_or_b64 exec, exec, s[8:9]
	s_mov_b64 s[8:9], -1
	s_mov_b64 s[0:1], 0
	global_store_byte v[0:1], v5, off
.LBB18_724:
	s_mov_b64 s[10:11], 0
.LBB18_725:
	s_and_b64 vcc, exec, s[10:11]
	s_cbranch_vccz .LBB18_728
; %bb.726:
	v_mov_b32_e32 v3, 29
	v_cmp_eq_u16_sdwa s[10:11], v6, v3 src0_sel:BYTE_0 src1_sel:DWORD
	s_mov_b64 s[0:1], -1
	s_and_b64 vcc, exec, s[10:11]
	s_cbranch_vccz .LBB18_728
; %bb.727:
	v_trunc_f32_e32 v3, v2
	v_mul_f32_e32 v5, 0x2f800000, v3
	v_floor_f32_e32 v5, v5
	v_fmac_f32_e32 v3, 0xcf800000, v5
	v_cvt_u32_f32_e32 v9, v5
	v_cvt_u32_f32_e32 v8, v3
	s_mov_b64 s[8:9], -1
	s_mov_b64 s[0:1], 0
	s_mov_b64 s[10:11], 0
	global_store_dwordx2 v[0:1], v[8:9], off
	s_branch .LBB18_729
.LBB18_728:
	s_mov_b64 s[10:11], 0
.LBB18_729:
	s_and_b64 vcc, exec, s[10:11]
	s_cbranch_vccz .LBB18_745
; %bb.730:
	v_mov_b32_e32 v3, 27
	v_cmp_lt_i16_sdwa s[10:11], v6, v3 src0_sel:BYTE_0 src1_sel:DWORD
	s_mov_b64 s[8:9], -1
	s_and_b64 vcc, exec, s[10:11]
	s_cbranch_vccnz .LBB18_736
; %bb.731:
	v_cmp_gt_i16_sdwa s[10:11], v6, v3 src0_sel:BYTE_0 src1_sel:DWORD
	v_cvt_u32_f32_e32 v3, v2
	s_and_b64 vcc, exec, s[10:11]
	s_cbranch_vccz .LBB18_733
; %bb.732:
	s_mov_b64 s[8:9], 0
	global_store_dword v[0:1], v3, off
.LBB18_733:
	s_andn2_b64 vcc, exec, s[8:9]
	s_cbranch_vccnz .LBB18_735
; %bb.734:
	global_store_short v[0:1], v3, off
.LBB18_735:
	s_mov_b64 s[8:9], 0
.LBB18_736:
	s_andn2_b64 vcc, exec, s[8:9]
	s_cbranch_vccnz .LBB18_744
; %bb.737:
	v_and_b32_e32 v3, 0x7fffffff, v2
	s_mov_b32 s8, 0x43800000
	v_cmp_gt_u32_e32 vcc, s8, v3
	v_mov_b32_e32 v5, 0x80
	s_and_saveexec_b64 s[8:9], vcc
	s_cbranch_execz .LBB18_743
; %bb.738:
	s_mov_b32 s10, 0x3bffffff
	v_cmp_lt_u32_e32 vcc, s10, v3
	s_mov_b64 s[10:11], 0
                                        ; implicit-def: $vgpr3
	s_and_saveexec_b64 s[12:13], vcc
	s_xor_b64 s[12:13], exec, s[12:13]
	s_cbranch_execz .LBB18_861
; %bb.739:
	v_bfe_u32 v3, v2, 20, 1
	s_mov_b32 s14, 0x487ffff
	v_add3_u32 v3, v2, v3, s14
	s_mov_b64 s[10:11], exec
	v_lshrrev_b32_e32 v3, 20, v3
	s_or_saveexec_b64 s[12:13], s[12:13]
                                        ; implicit-def: $sgpr14
	s_xor_b64 exec, exec, s[12:13]
	s_cbranch_execnz .LBB18_862
.LBB18_740:
	s_or_b64 exec, exec, s[12:13]
	v_mov_b32_e32 v5, s14
	s_and_saveexec_b64 s[12:13], s[10:11]
.LBB18_741:
	v_lshrrev_b32_e32 v5, 24, v2
	s_movk_i32 s10, 0x80
	v_and_or_b32 v5, v5, s10, v3
.LBB18_742:
	s_or_b64 exec, exec, s[12:13]
.LBB18_743:
	s_or_b64 exec, exec, s[8:9]
	global_store_byte v[0:1], v5, off
.LBB18_744:
	s_mov_b64 s[8:9], -1
.LBB18_745:
	s_mov_b64 s[10:11], 0
.LBB18_746:
	s_and_b64 vcc, exec, s[10:11]
	s_cbranch_vccz .LBB18_787
; %bb.747:
	v_mov_b32_e32 v3, 22
	v_cmp_gt_i16_sdwa s[12:13], v6, v3 src0_sel:BYTE_0 src1_sel:DWORD
	s_mov_b64 s[10:11], -1
	s_and_b64 vcc, exec, s[12:13]
	s_cbranch_vccz .LBB18_779
; %bb.748:
	v_mov_b32_e32 v3, 24
	v_cmp_lt_i16_sdwa s[10:11], v6, v3 src0_sel:BYTE_0 src1_sel:DWORD
	s_mov_b64 s[8:9], -1
	s_and_b64 vcc, exec, s[10:11]
	s_cbranch_vccnz .LBB18_768
; %bb.749:
	v_cmp_gt_i16_sdwa s[10:11], v6, v3 src0_sel:BYTE_0 src1_sel:DWORD
	s_and_b64 vcc, exec, s[10:11]
	s_cbranch_vccz .LBB18_757
; %bb.750:
	v_and_b32_e32 v3, 0x7fffffff, v2
	s_mov_b32 s8, 0x47800000
	v_cmp_gt_u32_e32 vcc, s8, v3
	v_mov_b32_e32 v5, 0x80
	s_and_saveexec_b64 s[8:9], vcc
	s_cbranch_execz .LBB18_756
; %bb.751:
	s_mov_b32 s10, 0x37ffffff
	v_cmp_lt_u32_e32 vcc, s10, v3
	s_mov_b64 s[10:11], 0
                                        ; implicit-def: $vgpr3
	s_and_saveexec_b64 s[12:13], vcc
	s_xor_b64 s[12:13], exec, s[12:13]
	s_cbranch_execz .LBB18_864
; %bb.752:
	v_bfe_u32 v3, v2, 21, 1
	s_mov_b32 s14, 0x88fffff
	v_add3_u32 v3, v2, v3, s14
	s_mov_b64 s[10:11], exec
	v_lshrrev_b32_e32 v3, 21, v3
	s_or_saveexec_b64 s[12:13], s[12:13]
                                        ; implicit-def: $sgpr14
	s_xor_b64 exec, exec, s[12:13]
	s_cbranch_execnz .LBB18_865
.LBB18_753:
	s_or_b64 exec, exec, s[12:13]
	v_mov_b32_e32 v5, s14
	s_and_saveexec_b64 s[12:13], s[10:11]
.LBB18_754:
	v_lshrrev_b32_e32 v5, 24, v2
	s_movk_i32 s10, 0x80
	v_and_or_b32 v5, v5, s10, v3
.LBB18_755:
	s_or_b64 exec, exec, s[12:13]
.LBB18_756:
	s_or_b64 exec, exec, s[8:9]
	s_mov_b64 s[8:9], 0
	global_store_byte v[0:1], v5, off
.LBB18_757:
	s_and_b64 vcc, exec, s[8:9]
	s_cbranch_vccz .LBB18_767
; %bb.758:
	v_and_b32_e32 v5, 0x7fffffff, v2
	s_mov_b32 s8, 0x43f00000
	v_cmp_gt_u32_e32 vcc, s8, v5
                                        ; implicit-def: $vgpr3
	s_and_saveexec_b64 s[8:9], vcc
	s_xor_b64 s[8:9], exec, s[8:9]
	s_cbranch_execz .LBB18_764
; %bb.759:
	s_mov_b32 s10, 0x3c7fffff
	v_cmp_lt_u32_e32 vcc, s10, v5
                                        ; implicit-def: $vgpr3
	s_and_saveexec_b64 s[10:11], vcc
	s_xor_b64 s[10:11], exec, s[10:11]
; %bb.760:
	v_bfe_u32 v3, v2, 20, 1
	s_mov_b32 s12, 0x407ffff
	v_add3_u32 v3, v2, v3, s12
	v_lshrrev_b32_e32 v5, 20, v3
	v_and_b32_e32 v3, 0xff00000, v3
	s_mov_b32 s12, 0x7f00000
	v_mov_b32_e32 v7, 0x7e
	v_cmp_ne_u32_e32 vcc, s12, v3
	v_cndmask_b32_e32 v3, v7, v5, vcc
; %bb.761:
	s_andn2_saveexec_b64 s[10:11], s[10:11]
; %bb.762:
	s_mov_b32 s12, 0x46800000
	v_add_f32_e64 v3, |v2|, s12
; %bb.763:
	s_or_b64 exec, exec, s[10:11]
                                        ; implicit-def: $vgpr5
.LBB18_764:
	s_andn2_saveexec_b64 s[8:9], s[8:9]
; %bb.765:
	s_mov_b32 s10, 0x7f800000
	v_mov_b32_e32 v3, 0x7e
	v_mov_b32_e32 v7, 0x7f
	v_cmp_lt_u32_e32 vcc, s10, v5
	v_cndmask_b32_e32 v3, v3, v7, vcc
; %bb.766:
	s_or_b64 exec, exec, s[8:9]
	v_lshrrev_b32_e32 v5, 24, v2
	s_movk_i32 s8, 0x80
	v_and_or_b32 v3, v5, s8, v3
	global_store_byte v[0:1], v3, off
.LBB18_767:
	s_mov_b64 s[8:9], 0
.LBB18_768:
	s_andn2_b64 vcc, exec, s[8:9]
	s_cbranch_vccnz .LBB18_778
; %bb.769:
	v_and_b32_e32 v5, 0x7fffffff, v2
	s_mov_b32 s8, 0x47800000
	v_cmp_gt_u32_e32 vcc, s8, v5
                                        ; implicit-def: $vgpr3
	s_and_saveexec_b64 s[8:9], vcc
	s_xor_b64 s[8:9], exec, s[8:9]
	s_cbranch_execz .LBB18_775
; %bb.770:
	s_mov_b32 s10, 0x387fffff
	v_cmp_lt_u32_e32 vcc, s10, v5
                                        ; implicit-def: $vgpr3
	s_and_saveexec_b64 s[10:11], vcc
	s_xor_b64 s[10:11], exec, s[10:11]
; %bb.771:
	v_bfe_u32 v3, v2, 21, 1
	s_mov_b32 s12, 0x80fffff
	v_add3_u32 v3, v2, v3, s12
	v_lshrrev_b32_e32 v3, 21, v3
; %bb.772:
	s_andn2_saveexec_b64 s[10:11], s[10:11]
; %bb.773:
	s_mov_b32 s12, 0x43000000
	v_add_f32_e64 v3, |v2|, s12
; %bb.774:
	s_or_b64 exec, exec, s[10:11]
                                        ; implicit-def: $vgpr5
.LBB18_775:
	s_andn2_saveexec_b64 s[8:9], s[8:9]
; %bb.776:
	s_mov_b32 s10, 0x7f800000
	v_mov_b32_e32 v3, 0x7c
	v_mov_b32_e32 v7, 0x7f
	v_cmp_lt_u32_e32 vcc, s10, v5
	v_cndmask_b32_e32 v3, v3, v7, vcc
; %bb.777:
	s_or_b64 exec, exec, s[8:9]
	v_lshrrev_b32_e32 v5, 24, v2
	s_movk_i32 s8, 0x80
	v_and_or_b32 v3, v5, s8, v3
	global_store_byte v[0:1], v3, off
.LBB18_778:
	s_mov_b64 s[10:11], 0
	s_mov_b64 s[8:9], -1
.LBB18_779:
	s_andn2_b64 vcc, exec, s[10:11]
	s_cbranch_vccnz .LBB18_787
; %bb.780:
	v_mov_b32_e32 v3, 14
	v_cmp_gt_i16_sdwa s[12:13], v6, v3 src0_sel:BYTE_0 src1_sel:DWORD
	s_mov_b64 s[10:11], -1
	s_and_b64 vcc, exec, s[12:13]
	s_cbranch_vccz .LBB18_784
; %bb.781:
	v_mov_b32_e32 v3, 15
	v_cmp_eq_u16_sdwa s[10:11], v6, v3 src0_sel:BYTE_0 src1_sel:DWORD
	s_mov_b64 s[0:1], -1
	s_and_b64 vcc, exec, s[10:11]
	s_cbranch_vccz .LBB18_783
; %bb.782:
	v_bfe_u32 v3, v2, 16, 1
	s_movk_i32 s0, 0x7fff
	v_add3_u32 v3, v2, v3, s0
	v_lshrrev_b32_e32 v3, 16, v3
	v_mov_b32_e32 v5, 0x7fc0
	v_cmp_o_f32_e32 vcc, v2, v2
	v_cndmask_b32_e32 v3, v5, v3, vcc
	global_store_short v[0:1], v3, off
	s_mov_b64 s[8:9], -1
	s_mov_b64 s[0:1], 0
.LBB18_783:
	s_mov_b64 s[10:11], 0
.LBB18_784:
	s_and_b64 vcc, exec, s[10:11]
	s_cbranch_vccz .LBB18_787
; %bb.785:
	v_mov_b32_e32 v3, 11
	v_cmp_eq_u16_sdwa s[10:11], v6, v3 src0_sel:BYTE_0 src1_sel:DWORD
	s_mov_b64 s[0:1], -1
	s_and_b64 vcc, exec, s[10:11]
	s_cbranch_vccz .LBB18_787
; %bb.786:
	v_cmp_neq_f32_e32 vcc, 0, v2
	v_cndmask_b32_e64 v3, 0, 1, vcc
	s_mov_b64 s[8:9], -1
	s_mov_b64 s[0:1], 0
	global_store_byte v[0:1], v3, off
.LBB18_787:
	s_mov_b64 s[10:11], 0
.LBB18_788:
	s_and_b64 vcc, exec, s[10:11]
	s_cbranch_vccz .LBB18_827
; %bb.789:
	v_mov_b32_e32 v3, 5
	v_cmp_lt_i16_sdwa s[10:11], v6, v3 src0_sel:BYTE_0 src1_sel:DWORD
	s_mov_b64 s[8:9], -1
	s_and_b64 vcc, exec, s[10:11]
	s_cbranch_vccnz .LBB18_810
; %bb.790:
	v_mov_b32_e32 v3, 8
	v_cmp_lt_i16_sdwa s[10:11], v6, v3 src0_sel:BYTE_0 src1_sel:DWORD
	s_and_b64 vcc, exec, s[10:11]
	s_cbranch_vccnz .LBB18_800
; %bb.791:
	v_mov_b32_e32 v3, 9
	v_cmp_lt_i16_sdwa s[10:11], v6, v3 src0_sel:BYTE_0 src1_sel:DWORD
	s_and_b64 vcc, exec, s[10:11]
	s_cbranch_vccnz .LBB18_797
; %bb.792:
	v_cmp_gt_i16_sdwa s[10:11], v6, v3 src0_sel:BYTE_0 src1_sel:DWORD
	s_and_b64 vcc, exec, s[10:11]
	s_cbranch_vccz .LBB18_794
; %bb.793:
	v_mov_b32_e32 v10, 0
	v_cvt_f64_f32_e32 v[8:9], v2
	v_mov_b32_e32 v11, v10
	s_mov_b64 s[8:9], 0
	global_store_dwordx4 v[0:1], v[8:11], off
.LBB18_794:
	s_andn2_b64 vcc, exec, s[8:9]
	s_cbranch_vccnz .LBB18_796
; %bb.795:
	v_mov_b32_e32 v3, 0
	global_store_dwordx2 v[0:1], v[2:3], off
.LBB18_796:
	s_mov_b64 s[8:9], 0
.LBB18_797:
	s_andn2_b64 vcc, exec, s[8:9]
	s_cbranch_vccnz .LBB18_799
; %bb.798:
	v_cvt_f16_f32_e32 v3, v2
	global_store_dword v[0:1], v3, off
.LBB18_799:
	s_mov_b64 s[8:9], 0
.LBB18_800:
	s_andn2_b64 vcc, exec, s[8:9]
	s_cbranch_vccnz .LBB18_809
; %bb.801:
	v_mov_b32_e32 v3, 6
	v_cmp_lt_i16_sdwa s[10:11], v6, v3 src0_sel:BYTE_0 src1_sel:DWORD
	s_mov_b64 s[8:9], -1
	s_and_b64 vcc, exec, s[10:11]
	s_cbranch_vccnz .LBB18_807
; %bb.802:
	v_cmp_gt_i16_sdwa s[10:11], v6, v3 src0_sel:BYTE_0 src1_sel:DWORD
	s_and_b64 vcc, exec, s[10:11]
	s_cbranch_vccz .LBB18_804
; %bb.803:
	v_cvt_f64_f32_e32 v[8:9], v2
	s_mov_b64 s[8:9], 0
	global_store_dwordx2 v[0:1], v[8:9], off
.LBB18_804:
	s_andn2_b64 vcc, exec, s[8:9]
	s_cbranch_vccnz .LBB18_806
; %bb.805:
	global_store_dword v[0:1], v2, off
.LBB18_806:
	s_mov_b64 s[8:9], 0
.LBB18_807:
	s_andn2_b64 vcc, exec, s[8:9]
	s_cbranch_vccnz .LBB18_809
; %bb.808:
	v_cvt_f16_f32_e32 v3, v2
	global_store_short v[0:1], v3, off
.LBB18_809:
	s_mov_b64 s[8:9], 0
.LBB18_810:
	s_andn2_b64 vcc, exec, s[8:9]
	s_cbranch_vccnz .LBB18_826
; %bb.811:
	v_mov_b32_e32 v3, 2
	v_cmp_lt_i16_sdwa s[10:11], v6, v3 src0_sel:BYTE_0 src1_sel:DWORD
	s_mov_b64 s[8:9], -1
	s_and_b64 vcc, exec, s[10:11]
	s_cbranch_vccnz .LBB18_821
; %bb.812:
	v_mov_b32_e32 v3, 3
	v_cmp_lt_i16_sdwa s[10:11], v6, v3 src0_sel:BYTE_0 src1_sel:DWORD
	s_and_b64 vcc, exec, s[10:11]
	s_cbranch_vccnz .LBB18_818
; %bb.813:
	v_cmp_gt_i16_sdwa s[10:11], v6, v3 src0_sel:BYTE_0 src1_sel:DWORD
	s_and_b64 vcc, exec, s[10:11]
	s_cbranch_vccz .LBB18_815
; %bb.814:
	v_trunc_f32_e32 v3, v2
	s_mov_b32 s8, 0x2f800000
	v_mul_f32_e64 v5, |v3|, s8
	v_floor_f32_e32 v5, v5
	s_mov_b32 s8, 0xcf800000
	v_cvt_u32_f32_e32 v7, v5
	v_fma_f32 v5, v5, s8, |v3|
	v_cvt_u32_f32_e32 v5, v5
	v_ashrrev_i32_e32 v3, 31, v3
	v_xor_b32_e32 v7, v7, v3
	s_mov_b64 s[8:9], 0
	v_xor_b32_e32 v5, v5, v3
	v_sub_co_u32_e32 v8, vcc, v5, v3
	v_subb_co_u32_e32 v9, vcc, v7, v3, vcc
	global_store_dwordx2 v[0:1], v[8:9], off
.LBB18_815:
	s_andn2_b64 vcc, exec, s[8:9]
	s_cbranch_vccnz .LBB18_817
; %bb.816:
	v_cvt_i32_f32_e32 v3, v2
	global_store_dword v[0:1], v3, off
.LBB18_817:
	s_mov_b64 s[8:9], 0
.LBB18_818:
	s_andn2_b64 vcc, exec, s[8:9]
	s_cbranch_vccnz .LBB18_820
; %bb.819:
	v_cvt_i32_f32_e32 v3, v2
	global_store_short v[0:1], v3, off
.LBB18_820:
	s_mov_b64 s[8:9], 0
.LBB18_821:
	s_andn2_b64 vcc, exec, s[8:9]
	s_cbranch_vccnz .LBB18_826
; %bb.822:
	v_mov_b32_e32 v3, 0
	v_cmp_gt_i16_sdwa s[10:11], v6, v3 src0_sel:BYTE_0 src1_sel:DWORD
	s_mov_b64 s[8:9], -1
	s_and_b64 vcc, exec, s[10:11]
	s_cbranch_vccz .LBB18_824
; %bb.823:
	v_cvt_i32_f32_e32 v3, v2
	s_mov_b64 s[8:9], 0
	global_store_byte v[0:1], v3, off
.LBB18_824:
	s_andn2_b64 vcc, exec, s[8:9]
	s_cbranch_vccnz .LBB18_826
; %bb.825:
	v_trunc_f32_e32 v2, v2
	s_mov_b32 s8, 0x2f800000
	v_mul_f32_e64 v3, |v2|, s8
	v_floor_f32_e32 v3, v3
	s_mov_b32 s8, 0xcf800000
	v_fma_f32 v3, v3, s8, |v2|
	v_cvt_u32_f32_e32 v3, v3
	v_ashrrev_i32_e32 v2, 31, v2
	v_xor_b32_e32 v3, v3, v2
	v_sub_u32_e32 v2, v3, v2
	global_store_byte v[0:1], v2, off
.LBB18_826:
	s_mov_b64 s[8:9], -1
.LBB18_827:
	s_andn2_b64 vcc, exec, s[8:9]
	s_cbranch_vccnz .LBB18_829
; %bb.828:
	v_add_u32_e32 v12, 0x80, v12
	s_mov_b64 s[8:9], -1
	s_branch .LBB18_831
.LBB18_829:
	s_mov_b64 s[8:9], 0
.LBB18_830:
                                        ; implicit-def: $vgpr12
.LBB18_831:
	s_andn2_b64 s[10:11], s[60:61], exec
	s_and_b64 s[0:1], s[0:1], exec
	s_or_b64 s[68:69], s[10:11], s[0:1]
	s_andn2_b64 s[0:1], s[58:59], exec
	s_and_b64 s[2:3], s[2:3], exec
	s_or_b64 s[66:67], s[0:1], s[2:3]
	s_orn2_b64 s[2:3], s[8:9], exec
.LBB18_832:
	s_or_b64 exec, exec, s[64:65]
	s_mov_b64 s[0:1], 0
	s_mov_b64 s[8:9], 0
	;; [unrolled: 1-line block ×3, first 2 shown]
                                        ; implicit-def: $vgpr2_vgpr3
                                        ; implicit-def: $vgpr0
                                        ; implicit-def: $vgpr7
	s_and_saveexec_b64 s[64:65], s[2:3]
	s_cbranch_execz .LBB18_932
; %bb.833:
	v_cmp_gt_i32_e32 vcc, s72, v12
	s_mov_b64 s[2:3], 0
	s_mov_b64 s[12:13], s[66:67]
                                        ; implicit-def: $vgpr2_vgpr3
                                        ; implicit-def: $vgpr0
                                        ; implicit-def: $vgpr7
	s_and_saveexec_b64 s[70:71], vcc
	s_cbranch_execz .LBB18_931
; %bb.834:
	s_andn2_b64 vcc, exec, s[40:41]
	s_cbranch_vccnz .LBB18_840
; %bb.835:
	s_mov_b32 s72, 0
	s_andn2_b64 vcc, exec, s[50:51]
	v_mov_b32_e32 v2, 0
	v_mov_b32_e32 v0, 0
	s_cbranch_vccnz .LBB18_846
; %bb.836:
	s_add_i32 s75, s73, 1
	s_cmp_eq_u32 s74, 2
	s_cbranch_scc1 .LBB18_841
; %bb.837:
	s_and_b32 s72, s75, 28
	s_mov_b32 s73, 0
	v_mov_b32_e32 v0, 0
	s_mov_b64 s[50:51], s[34:35]
	v_mov_b32_e32 v3, v12
	v_mov_b32_e32 v2, 0
.LBB18_838:                             ; =>This Inner Loop Header: Depth=1
	s_load_dwordx8 s[16:23], s[50:51], 0x4
	s_load_dwordx4 s[0:3], s[50:51], 0x24
	s_load_dwordx8 s[8:15], s[48:49], 0x0
	s_add_u32 s50, s50, 48
	s_addc_u32 s51, s51, 0
	s_waitcnt vmcnt(0) lgkmcnt(0)
	v_mul_hi_u32 v1, s17, v3
	v_add_u32_e32 v1, v3, v1
	v_lshrrev_b32_e32 v1, s18, v1
	v_mul_lo_u32 v5, v1, s16
	v_mul_hi_u32 v7, s20, v1
	v_sub_u32_e32 v3, v3, v5
	v_add_u32_e32 v5, v1, v7
	v_lshrrev_b32_e32 v5, s21, v5
	v_mul_lo_u32 v8, v5, s19
	v_mul_hi_u32 v9, s23, v5
	v_sub_u32_e32 v1, v1, v8
	v_add_u32_e32 v8, v5, v9
	v_mul_lo_u32 v7, v3, s9
	v_mul_lo_u32 v3, v3, s8
	;; [unrolled: 1-line block ×4, first 2 shown]
	v_lshrrev_b32_e32 v8, s0, v8
	v_add3_u32 v0, v3, v0, v1
	v_mul_hi_u32 v3, s2, v8
	v_add_u32_e32 v3, v8, v3
	v_lshrrev_b32_e32 v3, s3, v3
	s_add_i32 s73, s73, 4
	v_add3_u32 v1, v7, v2, v9
	v_mul_lo_u32 v2, v8, s22
	v_mul_lo_u32 v7, v3, s1
	s_add_u32 s48, s48, 32
	v_sub_u32_e32 v2, v5, v2
	v_sub_u32_e32 v7, v8, v7
	s_addc_u32 s49, s49, 0
	v_mul_lo_u32 v5, v2, s12
	v_mul_lo_u32 v2, v2, s13
	;; [unrolled: 1-line block ×4, first 2 shown]
	s_cmp_eq_u32 s72, s73
	v_add3_u32 v2, v2, v1, v7
	v_add3_u32 v0, v5, v0, v8
	s_cbranch_scc0 .LBB18_838
; %bb.839:
	v_mov_b32_e32 v1, v2
	s_branch .LBB18_842
.LBB18_840:
	s_mov_b64 s[0:1], -1
                                        ; implicit-def: $vgpr2
                                        ; implicit-def: $vgpr0
	s_branch .LBB18_847
.LBB18_841:
	s_mov_b32 s73, s72
	s_waitcnt vmcnt(0)
	v_pk_mov_b32 v[0:1], s[72:73], s[72:73] op_sel:[0,1]
                                        ; implicit-def: $vgpr2
	v_mov_b32_e32 v3, v12
.LBB18_842:
	s_and_b32 s8, s75, 3
	s_cmp_eq_u32 s8, 0
	s_cbranch_scc1 .LBB18_846
; %bb.843:
	s_lshl_b32 s0, s72, 3
	s_add_u32 s0, s0, s34
	s_addc_u32 s1, s35, 0
	s_add_u32 s0, s0, 0xc4
	s_addc_u32 s1, s1, 0
	s_mul_i32 s2, s72, 12
	s_add_u32 s2, s34, s2
	s_addc_u32 s3, s35, 0
.LBB18_844:                             ; =>This Inner Loop Header: Depth=1
	s_load_dwordx2 s[10:11], s[2:3], 0x4
	s_load_dword s9, s[2:3], 0xc
	s_load_dwordx2 s[12:13], s[0:1], 0x0
	v_mov_b32_e32 v2, v1
	s_add_u32 s2, s2, 12
	s_waitcnt lgkmcnt(0)
	v_mul_hi_u32 v1, s11, v3
	v_add_u32_e32 v1, v3, v1
	v_lshrrev_b32_e32 v1, s9, v1
	s_addc_u32 s3, s3, 0
	v_mul_lo_u32 v5, v1, s10
	s_add_u32 s0, s0, 8
	v_sub_u32_e32 v5, v3, v5
	v_mov_b32_e32 v3, v1
	s_addc_u32 s1, s1, 0
	s_add_i32 s8, s8, -1
	v_mad_u64_u32 v[8:9], s[10:11], v5, s13, v[2:3]
	v_mad_u64_u32 v[0:1], s[10:11], v5, s12, v[0:1]
	s_cmp_lg_u32 s8, 0
	v_mov_b32_e32 v1, v8
	s_cbranch_scc1 .LBB18_844
; %bb.845:
	v_mov_b32_e32 v2, v1
.LBB18_846:
	s_mov_b64 s[0:1], 0
.LBB18_847:
	s_andn2_b64 vcc, exec, s[0:1]
	s_cbranch_vccnz .LBB18_850
; %bb.848:
	s_waitcnt lgkmcnt(0)
	v_mul_hi_u32 v0, s37, v12
	v_add_u32_e32 v0, v12, v0
	s_waitcnt vmcnt(0)
	v_lshrrev_b32_e32 v1, s38, v0
	v_mul_lo_u32 v0, v1, s36
	v_sub_u32_e32 v0, v12, v0
	v_mul_lo_u32 v2, v0, s29
	s_andn2_b64 vcc, exec, s[46:47]
	v_mul_lo_u32 v0, v0, s28
	s_cbranch_vccnz .LBB18_850
; %bb.849:
	v_mul_hi_u32 v3, s44, v1
	v_add_u32_e32 v3, v1, v3
	v_lshrrev_b32_e32 v3, s45, v3
	v_mul_lo_u32 v3, v3, s39
	v_sub_u32_e32 v3, v1, v3
	v_mad_u64_u32 v[0:1], s[0:1], v3, s30, v[0:1]
	v_mad_u64_u32 v[2:3], s[0:1], v3, s31, v[2:3]
.LBB18_850:
	s_waitcnt vmcnt(0) lgkmcnt(0)
	v_mov_b32_e32 v1, s27
	v_add_co_u32_e32 v2, vcc, s26, v2
	v_addc_co_u32_e32 v3, vcc, 0, v1, vcc
	v_cmp_gt_i16_e32 vcc, 11, v4
	s_cbranch_vccnz .LBB18_857
; %bb.851:
	v_cmp_lt_i16_e32 vcc, 25, v4
	s_mov_b64 s[2:3], 0
	s_cbranch_vccz .LBB18_858
; %bb.852:
	v_cmp_lt_i16_e32 vcc, 28, v4
	s_cbranch_vccz .LBB18_859
; %bb.853:
	v_cmp_lt_i16_e32 vcc, 43, v4
	;; [unrolled: 3-line block ×3, first 2 shown]
	s_cbranch_vccz .LBB18_863
; %bb.855:
	v_cmp_eq_u16_e32 vcc, 46, v4
	s_mov_b64 s[10:11], 0
	s_cbranch_vccz .LBB18_866
; %bb.856:
	global_load_dword v1, v[2:3], off
	s_mov_b64 s[0:1], 0
	s_mov_b64 s[8:9], -1
	s_waitcnt vmcnt(0)
	v_lshlrev_b32_e32 v7, 16, v1
	s_branch .LBB18_867
.LBB18_857:
	s_mov_b64 s[12:13], -1
	s_mov_b64 s[8:9], 0
	s_mov_b64 s[2:3], 0
	;; [unrolled: 1-line block ×3, first 2 shown]
                                        ; implicit-def: $vgpr7
	s_branch .LBB18_930
.LBB18_858:
	s_mov_b64 s[10:11], -1
	s_mov_b64 s[8:9], 0
	s_mov_b64 s[0:1], s[66:67]
                                        ; implicit-def: $vgpr7
	s_branch .LBB18_896
.LBB18_859:
	s_mov_b64 s[10:11], -1
	s_mov_b64 s[8:9], 0
	s_mov_b64 s[0:1], s[66:67]
                                        ; implicit-def: $vgpr7
	s_branch .LBB18_877
.LBB18_860:
	s_mov_b64 s[10:11], -1
	s_mov_b64 s[8:9], 0
	s_mov_b64 s[0:1], s[66:67]
                                        ; implicit-def: $vgpr7
	s_branch .LBB18_872
.LBB18_861:
	s_or_saveexec_b64 s[12:13], s[12:13]
                                        ; implicit-def: $sgpr14
	s_xor_b64 exec, exec, s[12:13]
	s_cbranch_execz .LBB18_740
.LBB18_862:
	s_mov_b32 s14, 0x46000000
	v_add_f32_e64 v3, |v2|, s14
	v_and_b32_e32 v3, 0xff, v3
	v_cmp_ne_u32_e32 vcc, 0, v3
	s_andn2_b64 s[10:11], s[10:11], exec
	s_and_b64 s[16:17], vcc, exec
	s_mov_b32 s14, 0
	s_or_b64 s[10:11], s[10:11], s[16:17]
	s_or_b64 exec, exec, s[12:13]
	v_mov_b32_e32 v5, s14
	s_and_saveexec_b64 s[12:13], s[10:11]
	s_cbranch_execnz .LBB18_741
	s_branch .LBB18_742
.LBB18_863:
	s_mov_b64 s[10:11], -1
	s_mov_b64 s[8:9], 0
	s_mov_b64 s[0:1], s[66:67]
                                        ; implicit-def: $vgpr7
	s_branch .LBB18_867
.LBB18_864:
	s_or_saveexec_b64 s[12:13], s[12:13]
                                        ; implicit-def: $sgpr14
	s_xor_b64 exec, exec, s[12:13]
	s_cbranch_execz .LBB18_753
.LBB18_865:
	s_mov_b32 s14, 0x42800000
	v_add_f32_e64 v3, |v2|, s14
	v_and_b32_e32 v3, 0xff, v3
	v_cmp_ne_u32_e32 vcc, 0, v3
	s_andn2_b64 s[10:11], s[10:11], exec
	s_and_b64 s[16:17], vcc, exec
	s_mov_b32 s14, 0
	s_or_b64 s[10:11], s[10:11], s[16:17]
	s_or_b64 exec, exec, s[12:13]
	v_mov_b32_e32 v5, s14
	s_and_saveexec_b64 s[12:13], s[10:11]
	s_cbranch_execnz .LBB18_754
	s_branch .LBB18_755
.LBB18_866:
	s_mov_b64 s[0:1], -1
                                        ; implicit-def: $vgpr7
	s_mov_b64 s[8:9], 0
.LBB18_867:
	s_and_b64 vcc, exec, s[10:11]
	s_cbranch_vccz .LBB18_871
; %bb.868:
	v_cmp_eq_u16_e32 vcc, 44, v4
	s_cbranch_vccz .LBB18_870
; %bb.869:
	global_load_ubyte v1, v[2:3], off
	s_movk_i32 s8, 0xff
	v_mov_b32_e32 v5, 0x7f800001
	v_mov_b32_e32 v7, 0x400000
	s_mov_b64 s[0:1], 0
	s_waitcnt vmcnt(0)
	v_lshlrev_b32_e32 v8, 23, v1
	v_cmp_ne_u32_e32 vcc, s8, v1
	v_cndmask_b32_e32 v5, v5, v8, vcc
	v_cmp_ne_u32_e32 vcc, 0, v1
	v_cndmask_b32_e32 v7, v7, v5, vcc
	s_mov_b64 s[8:9], -1
	s_branch .LBB18_871
.LBB18_870:
	s_mov_b64 s[0:1], -1
                                        ; implicit-def: $vgpr7
.LBB18_871:
	s_mov_b64 s[10:11], 0
.LBB18_872:
	s_and_b64 vcc, exec, s[10:11]
	s_cbranch_vccz .LBB18_876
; %bb.873:
	v_cmp_eq_u16_e32 vcc, 29, v4
	s_cbranch_vccz .LBB18_875
; %bb.874:
	global_load_dwordx2 v[8:9], v[2:3], off
	s_mov_b64 s[0:1], 0
	s_mov_b64 s[8:9], -1
	s_mov_b64 s[10:11], 0
	s_waitcnt vmcnt(0)
	v_ffbh_u32_e32 v1, v9
	v_min_u32_e32 v1, 32, v1
	v_lshlrev_b64 v[8:9], v1, v[8:9]
	v_min_u32_e32 v5, 1, v8
	v_or_b32_e32 v5, v9, v5
	v_cvt_f32_u32_e32 v5, v5
	v_sub_u32_e32 v1, 32, v1
	v_ldexp_f32 v7, v5, v1
	s_branch .LBB18_877
.LBB18_875:
	s_mov_b64 s[0:1], -1
                                        ; implicit-def: $vgpr7
.LBB18_876:
	s_mov_b64 s[10:11], 0
.LBB18_877:
	s_and_b64 vcc, exec, s[10:11]
	s_cbranch_vccz .LBB18_895
; %bb.878:
	v_cmp_gt_i16_e32 vcc, 27, v4
	s_cbranch_vccnz .LBB18_881
; %bb.879:
	v_cmp_lt_i16_e32 vcc, 27, v4
	s_cbranch_vccz .LBB18_882
; %bb.880:
	global_load_dword v1, v[2:3], off
	s_mov_b64 s[8:9], 0
	s_waitcnt vmcnt(0)
	v_cvt_f32_u32_e32 v7, v1
	s_branch .LBB18_883
.LBB18_881:
	s_mov_b64 s[8:9], -1
                                        ; implicit-def: $vgpr7
	s_branch .LBB18_886
.LBB18_882:
	s_mov_b64 s[8:9], -1
                                        ; implicit-def: $vgpr7
.LBB18_883:
	s_andn2_b64 vcc, exec, s[8:9]
	s_cbranch_vccnz .LBB18_885
; %bb.884:
	global_load_ushort v1, v[2:3], off
	s_waitcnt vmcnt(0)
	v_cvt_f32_u32_e32 v7, v1
.LBB18_885:
	s_mov_b64 s[8:9], 0
.LBB18_886:
	s_andn2_b64 vcc, exec, s[8:9]
	s_cbranch_vccnz .LBB18_894
; %bb.887:
	global_load_ubyte v1, v[2:3], off
	s_movk_i32 s8, 0x7f
                                        ; implicit-def: $sgpr14
	s_waitcnt vmcnt(0)
	v_cmp_lt_i16_e32 vcc, s8, v1
	s_mov_b64 s[8:9], 0
	s_and_saveexec_b64 s[10:11], vcc
	s_xor_b64 s[10:11], exec, s[10:11]
	s_cbranch_execz .LBB18_908
; %bb.888:
	s_movk_i32 s8, 0x80
	v_cmp_eq_u16_e32 vcc, s8, v1
	s_mov_b64 s[8:9], -1
                                        ; implicit-def: $sgpr14
	s_and_saveexec_b64 s[12:13], vcc
; %bb.889:
	s_mov_b32 s14, 0x7f800001
	s_xor_b64 s[8:9], exec, -1
; %bb.890:
	s_or_b64 exec, exec, s[12:13]
	s_and_b64 s[8:9], s[8:9], exec
	s_or_saveexec_b64 s[10:11], s[10:11]
	v_mov_b32_e32 v7, s14
	s_xor_b64 exec, exec, s[10:11]
	s_cbranch_execnz .LBB18_909
.LBB18_891:
	s_or_b64 exec, exec, s[10:11]
	s_and_saveexec_b64 s[10:11], s[8:9]
	s_cbranch_execz .LBB18_893
.LBB18_892:
	v_lshlrev_b32_e32 v5, 24, v1
	v_and_b32_e32 v1, 0xffff, v1
	v_and_b32_e32 v7, 7, v1
	v_ffbh_u32_e32 v9, v7
	v_min_u32_e32 v9, 32, v9
	v_subrev_u32_e32 v10, 28, v9
	v_bfe_u32 v8, v1, 3, 4
	v_lshlrev_b32_e32 v1, v10, v1
	v_sub_u32_e32 v9, 29, v9
	v_and_b32_e32 v1, 7, v1
	v_cmp_eq_u32_e32 vcc, 0, v8
	v_cndmask_b32_e32 v8, v8, v9, vcc
	v_cndmask_b32_e32 v1, v7, v1, vcc
	v_mov_b32_e32 v7, 0x3b800000
	v_lshlrev_b32_e32 v1, 20, v1
	v_and_b32_e32 v5, 0x80000000, v5
	v_lshl_add_u32 v7, v8, 23, v7
	v_or3_b32 v7, v5, v7, v1
.LBB18_893:
	s_or_b64 exec, exec, s[10:11]
.LBB18_894:
	s_mov_b64 s[8:9], -1
.LBB18_895:
	s_mov_b64 s[10:11], 0
.LBB18_896:
	s_and_b64 vcc, exec, s[10:11]
	s_cbranch_vccz .LBB18_929
; %bb.897:
	v_cmp_lt_i16_e32 vcc, 22, v4
	s_cbranch_vccz .LBB18_907
; %bb.898:
	v_cmp_gt_i16_e32 vcc, 24, v4
	s_cbranch_vccnz .LBB18_910
; %bb.899:
	v_cmp_lt_i16_e32 vcc, 24, v4
	s_cbranch_vccz .LBB18_911
; %bb.900:
	global_load_ubyte v1, v[2:3], off
	s_movk_i32 s2, 0x7f
                                        ; implicit-def: $sgpr12
	s_waitcnt vmcnt(0)
	v_cmp_lt_i16_e32 vcc, s2, v1
	s_mov_b64 s[2:3], 0
	s_and_saveexec_b64 s[8:9], vcc
	s_xor_b64 s[8:9], exec, s[8:9]
	s_cbranch_execz .LBB18_923
; %bb.901:
	s_movk_i32 s2, 0x80
	v_cmp_eq_u16_e32 vcc, s2, v1
	s_mov_b64 s[2:3], -1
                                        ; implicit-def: $sgpr12
	s_and_saveexec_b64 s[10:11], vcc
; %bb.902:
	s_mov_b32 s12, 0x7f800001
	s_xor_b64 s[2:3], exec, -1
; %bb.903:
	s_or_b64 exec, exec, s[10:11]
	s_and_b64 s[2:3], s[2:3], exec
	s_or_saveexec_b64 s[8:9], s[8:9]
	v_mov_b32_e32 v7, s12
	s_xor_b64 exec, exec, s[8:9]
	s_cbranch_execnz .LBB18_924
.LBB18_904:
	s_or_b64 exec, exec, s[8:9]
	s_and_saveexec_b64 s[8:9], s[2:3]
	s_cbranch_execz .LBB18_906
.LBB18_905:
	v_lshlrev_b32_e32 v5, 24, v1
	v_and_b32_e32 v1, 0xffff, v1
	v_and_b32_e32 v7, 3, v1
	v_ffbh_u32_e32 v9, v7
	v_min_u32_e32 v9, 32, v9
	v_subrev_u32_e32 v10, 29, v9
	v_bfe_u32 v8, v1, 2, 5
	v_lshlrev_b32_e32 v1, v10, v1
	v_sub_u32_e32 v9, 30, v9
	v_and_b32_e32 v1, 3, v1
	v_cmp_eq_u32_e32 vcc, 0, v8
	v_cndmask_b32_e32 v8, v8, v9, vcc
	v_cndmask_b32_e32 v1, v7, v1, vcc
	v_mov_b32_e32 v7, 0x37800000
	v_lshlrev_b32_e32 v1, 21, v1
	v_and_b32_e32 v5, 0x80000000, v5
	v_lshl_add_u32 v7, v8, 23, v7
	v_or3_b32 v7, v5, v7, v1
.LBB18_906:
	s_or_b64 exec, exec, s[8:9]
	s_mov_b64 s[2:3], 0
	s_branch .LBB18_912
.LBB18_907:
	s_mov_b64 s[2:3], -1
                                        ; implicit-def: $vgpr7
	s_branch .LBB18_918
.LBB18_908:
	s_or_saveexec_b64 s[10:11], s[10:11]
	v_mov_b32_e32 v7, s14
	s_xor_b64 exec, exec, s[10:11]
	s_cbranch_execz .LBB18_891
.LBB18_909:
	v_cmp_ne_u16_e32 vcc, 0, v1
	s_andn2_b64 s[8:9], s[8:9], exec
	s_and_b64 s[12:13], vcc, exec
	v_mov_b32_e32 v7, 0
	s_or_b64 s[8:9], s[8:9], s[12:13]
	s_or_b64 exec, exec, s[10:11]
	s_and_saveexec_b64 s[10:11], s[8:9]
	s_cbranch_execnz .LBB18_892
	s_branch .LBB18_893
.LBB18_910:
	s_mov_b64 s[2:3], -1
                                        ; implicit-def: $vgpr7
	s_branch .LBB18_915
.LBB18_911:
	s_mov_b64 s[2:3], -1
                                        ; implicit-def: $vgpr7
.LBB18_912:
	s_and_b64 vcc, exec, s[2:3]
	s_cbranch_vccz .LBB18_914
; %bb.913:
	global_load_ubyte v1, v[2:3], off
	s_mov_b32 s2, 0x7f800000
	s_waitcnt vmcnt(0)
	v_lshlrev_b32_e32 v1, 24, v1
	v_and_b32_e32 v5, 0x7f000000, v1
	v_ffbh_u32_e32 v7, v5
	v_min_u32_e32 v7, 32, v7
	v_sub_u32_e64 v7, v7, 4 clamp
	v_lshlrev_b32_e32 v9, v7, v5
	v_lshlrev_b32_e32 v7, 23, v7
	v_lshrrev_b32_e32 v9, 4, v9
	v_add_u32_e32 v8, 0x1000000, v5
	v_sub_u32_e32 v7, v9, v7
	v_ashrrev_i32_e32 v8, 8, v8
	v_add_u32_e32 v7, 0x3c000000, v7
	v_and_or_b32 v7, v8, s2, v7
	v_cmp_ne_u32_e32 vcc, 0, v5
	v_cndmask_b32_e32 v5, 0, v7, vcc
	s_brev_b32 s2, 1
	v_and_or_b32 v7, v1, s2, v5
.LBB18_914:
	s_mov_b64 s[2:3], 0
.LBB18_915:
	s_andn2_b64 vcc, exec, s[2:3]
	s_cbranch_vccnz .LBB18_917
; %bb.916:
	global_load_ubyte v1, v[2:3], off
	s_movk_i32 s2, 0x7f00
	s_brev_b32 s3, 16
	s_waitcnt vmcnt(0)
	v_lshlrev_b16_e32 v5, 8, v1
	v_lshlrev_b32_e32 v1, 25, v1
	v_lshrrev_b32_e32 v7, 4, v1
	v_and_or_b32 v8, v5, s2, 0.5
	v_or_b32_e32 v7, 0x70000000, v7
	v_add_f32_e32 v8, -0.5, v8
	v_mul_f32_e32 v7, 0x7800000, v7
	v_cmp_gt_u32_e32 vcc, s3, v1
	v_bfe_i32 v5, v5, 0, 16
	v_cndmask_b32_e32 v1, v7, v8, vcc
	s_brev_b32 s2, 1
	v_and_or_b32 v7, v5, s2, v1
.LBB18_917:
	s_mov_b64 s[2:3], 0
	s_mov_b64 s[8:9], -1
.LBB18_918:
	s_andn2_b64 vcc, exec, s[2:3]
	s_mov_b64 s[2:3], 0
	s_cbranch_vccnz .LBB18_929
; %bb.919:
	v_cmp_lt_i16_e32 vcc, 14, v4
	s_cbranch_vccz .LBB18_922
; %bb.920:
	v_cmp_eq_u16_e32 vcc, 15, v4
	s_cbranch_vccz .LBB18_925
; %bb.921:
	global_load_ushort v1, v[2:3], off
	s_mov_b64 s[0:1], 0
	s_mov_b64 s[8:9], -1
	s_waitcnt vmcnt(0)
	v_lshlrev_b32_e32 v7, 16, v1
	s_branch .LBB18_926
.LBB18_922:
	s_mov_b64 s[10:11], -1
                                        ; implicit-def: $vgpr7
	s_branch .LBB18_927
.LBB18_923:
	s_or_saveexec_b64 s[8:9], s[8:9]
	v_mov_b32_e32 v7, s12
	s_xor_b64 exec, exec, s[8:9]
	s_cbranch_execz .LBB18_904
.LBB18_924:
	v_cmp_ne_u16_e32 vcc, 0, v1
	s_andn2_b64 s[2:3], s[2:3], exec
	s_and_b64 s[10:11], vcc, exec
	v_mov_b32_e32 v7, 0
	s_or_b64 s[2:3], s[2:3], s[10:11]
	s_or_b64 exec, exec, s[8:9]
	s_and_saveexec_b64 s[8:9], s[2:3]
	s_cbranch_execnz .LBB18_905
	s_branch .LBB18_906
.LBB18_925:
	s_mov_b64 s[0:1], -1
                                        ; implicit-def: $vgpr7
.LBB18_926:
	s_mov_b64 s[10:11], 0
.LBB18_927:
	s_and_b64 vcc, exec, s[10:11]
	s_cbranch_vccz .LBB18_929
; %bb.928:
	v_cmp_ne_u16_e32 vcc, 11, v4
	s_andn2_b64 s[0:1], s[0:1], exec
	s_and_b64 s[10:11], vcc, exec
	s_mov_b64 s[2:3], -1
	s_or_b64 s[0:1], s[0:1], s[10:11]
                                        ; implicit-def: $vgpr7
.LBB18_929:
	s_mov_b64 s[12:13], 0
.LBB18_930:
	s_and_b64 s[10:11], s[8:9], exec
	s_and_b64 s[8:9], s[12:13], exec
	s_andn2_b64 s[12:13], s[66:67], exec
	s_and_b64 s[0:1], s[0:1], exec
	s_and_b64 s[2:3], s[2:3], exec
	s_or_b64 s[12:13], s[12:13], s[0:1]
.LBB18_931:
	s_or_b64 exec, exec, s[70:71]
	s_and_b64 s[0:1], s[2:3], exec
	s_andn2_b64 s[2:3], s[66:67], exec
	s_and_b64 s[12:13], s[12:13], exec
	s_and_b64 s[10:11], s[10:11], exec
	;; [unrolled: 1-line block ×3, first 2 shown]
	s_or_b64 s[66:67], s[2:3], s[12:13]
.LBB18_932:
	s_or_b64 exec, exec, s[64:65]
	s_andn2_b64 s[2:3], s[60:61], exec
	s_and_b64 s[12:13], s[68:69], exec
	s_or_b64 s[60:61], s[2:3], s[12:13]
	s_and_b64 s[2:3], s[0:1], exec
	s_andn2_b64 s[0:1], s[58:59], exec
	s_and_b64 s[12:13], s[66:67], exec
	s_and_b64 s[10:11], s[10:11], exec
	;; [unrolled: 1-line block ×3, first 2 shown]
	s_or_b64 s[58:59], s[0:1], s[12:13]
.LBB18_933:
	s_or_b64 exec, exec, s[62:63]
	s_andn2_b64 s[0:1], s[52:53], exec
	s_and_b64 s[12:13], s[60:61], exec
	s_or_b64 s[52:53], s[0:1], s[12:13]
	s_and_b64 s[0:1], s[10:11], exec
	s_and_b64 s[10:11], s[8:9], exec
	;; [unrolled: 1-line block ×3, first 2 shown]
	s_andn2_b64 s[2:3], s[54:55], exec
	s_and_b64 s[8:9], s[58:59], exec
	s_or_b64 s[54:55], s[2:3], s[8:9]
	s_or_b64 exec, exec, s[56:57]
	s_mov_b64 s[2:3], 0
	s_and_saveexec_b64 s[8:9], s[54:55]
	s_cbranch_execz .LBB18_280
.LBB18_934:
	s_mov_b64 s[2:3], exec
	s_andn2_b64 s[60:61], s[60:61], exec
	s_trap 2
                                        ; implicit-def: $vgpr7
	s_or_b64 exec, exec, s[8:9]
	s_and_saveexec_b64 s[8:9], s[60:61]
	s_xor_b64 s[8:9], exec, s[8:9]
	s_cbranch_execnz .LBB18_281
.LBB18_935:
	s_or_b64 exec, exec, s[8:9]
	s_and_saveexec_b64 s[8:9], s[10:11]
	s_cbranch_execz .LBB18_981
.LBB18_936:
	v_cmp_gt_i16_e32 vcc, 5, v4
	s_cbranch_vccnz .LBB18_941
; %bb.937:
	v_cmp_gt_i16_e32 vcc, 8, v4
	s_cbranch_vccnz .LBB18_942
; %bb.938:
	;; [unrolled: 3-line block ×3, first 2 shown]
	v_cmp_lt_i16_e32 vcc, 9, v4
	s_cbranch_vccz .LBB18_944
; %bb.940:
	global_load_dwordx2 v[8:9], v[2:3], off
	s_mov_b64 s[10:11], 0
	s_waitcnt vmcnt(0)
	v_cvt_f32_f64_e32 v7, v[8:9]
	s_branch .LBB18_945
.LBB18_941:
                                        ; implicit-def: $vgpr7
	s_branch .LBB18_962
.LBB18_942:
                                        ; implicit-def: $vgpr7
	s_branch .LBB18_951
.LBB18_943:
	s_mov_b64 s[10:11], -1
                                        ; implicit-def: $vgpr7
	s_branch .LBB18_948
.LBB18_944:
	s_mov_b64 s[10:11], -1
                                        ; implicit-def: $vgpr7
.LBB18_945:
	s_andn2_b64 vcc, exec, s[10:11]
	s_cbranch_vccnz .LBB18_947
; %bb.946:
	global_load_dword v7, v[2:3], off
.LBB18_947:
	s_mov_b64 s[10:11], 0
.LBB18_948:
	s_andn2_b64 vcc, exec, s[10:11]
	s_cbranch_vccnz .LBB18_950
; %bb.949:
	global_load_dword v1, v[2:3], off
	s_waitcnt vmcnt(0)
	v_cvt_f32_f16_e32 v7, v1
.LBB18_950:
	s_cbranch_execnz .LBB18_961
.LBB18_951:
	v_cmp_gt_i16_e32 vcc, 6, v4
	s_cbranch_vccnz .LBB18_954
; %bb.952:
	v_cmp_lt_i16_e32 vcc, 6, v4
	s_cbranch_vccz .LBB18_955
; %bb.953:
	global_load_dwordx2 v[8:9], v[2:3], off
	s_mov_b64 s[10:11], 0
	s_waitcnt vmcnt(0)
	v_cvt_f32_f64_e32 v7, v[8:9]
	s_branch .LBB18_956
.LBB18_954:
	s_mov_b64 s[10:11], -1
                                        ; implicit-def: $vgpr7
	s_branch .LBB18_959
.LBB18_955:
	s_mov_b64 s[10:11], -1
                                        ; implicit-def: $vgpr7
.LBB18_956:
	s_andn2_b64 vcc, exec, s[10:11]
	s_cbranch_vccnz .LBB18_958
; %bb.957:
	global_load_dword v7, v[2:3], off
.LBB18_958:
	s_mov_b64 s[10:11], 0
.LBB18_959:
	s_andn2_b64 vcc, exec, s[10:11]
	s_cbranch_vccnz .LBB18_961
; %bb.960:
	global_load_ushort v1, v[2:3], off
	s_waitcnt vmcnt(0)
	v_cvt_f32_f16_e32 v7, v1
.LBB18_961:
	s_cbranch_execnz .LBB18_980
.LBB18_962:
	v_cmp_gt_i16_e32 vcc, 2, v4
	s_cbranch_vccnz .LBB18_966
; %bb.963:
	v_cmp_gt_i16_e32 vcc, 3, v4
	s_cbranch_vccnz .LBB18_967
; %bb.964:
	v_cmp_lt_i16_e32 vcc, 3, v4
	s_cbranch_vccz .LBB18_968
; %bb.965:
	global_load_dwordx2 v[8:9], v[2:3], off
	s_mov_b64 s[10:11], 0
	s_waitcnt vmcnt(0)
	v_xor_b32_e32 v5, v8, v9
	v_ffbh_i32_e32 v1, v9
	v_ashrrev_i32_e32 v5, 31, v5
	v_add_u32_e32 v1, -1, v1
	v_add_u32_e32 v5, 32, v5
	v_min_u32_e32 v1, v1, v5
	v_lshlrev_b64 v[8:9], v1, v[8:9]
	v_min_u32_e32 v5, 1, v8
	v_or_b32_e32 v5, v9, v5
	v_cvt_f32_i32_e32 v5, v5
	v_sub_u32_e32 v1, 32, v1
	v_ldexp_f32 v7, v5, v1
	s_branch .LBB18_969
.LBB18_966:
                                        ; implicit-def: $vgpr7
	s_branch .LBB18_975
.LBB18_967:
	s_mov_b64 s[10:11], -1
                                        ; implicit-def: $vgpr7
	s_branch .LBB18_972
.LBB18_968:
	s_mov_b64 s[10:11], -1
                                        ; implicit-def: $vgpr7
.LBB18_969:
	s_andn2_b64 vcc, exec, s[10:11]
	s_cbranch_vccnz .LBB18_971
; %bb.970:
	global_load_dword v1, v[2:3], off
	s_waitcnt vmcnt(0)
	v_cvt_f32_i32_e32 v7, v1
.LBB18_971:
	s_mov_b64 s[10:11], 0
.LBB18_972:
	s_andn2_b64 vcc, exec, s[10:11]
	s_cbranch_vccnz .LBB18_974
; %bb.973:
	global_load_sshort v1, v[2:3], off
	s_waitcnt vmcnt(0)
	v_cvt_f32_i32_e32 v7, v1
.LBB18_974:
	s_cbranch_execnz .LBB18_980
.LBB18_975:
	v_cmp_lt_i16_e32 vcc, 0, v4
	s_cbranch_vccz .LBB18_977
; %bb.976:
	global_load_sbyte v1, v[2:3], off
	s_mov_b64 s[10:11], 0
	s_waitcnt vmcnt(0)
	v_cvt_f32_i32_e32 v7, v1
	s_branch .LBB18_978
.LBB18_977:
	s_mov_b64 s[10:11], -1
                                        ; implicit-def: $vgpr7
.LBB18_978:
	s_andn2_b64 vcc, exec, s[10:11]
	s_cbranch_vccnz .LBB18_980
; %bb.979:
	global_load_ubyte v1, v[2:3], off
	s_waitcnt vmcnt(0)
	v_cvt_f32_ubyte0_e32 v7, v1
.LBB18_980:
	s_or_b64 s[0:1], s[0:1], exec
.LBB18_981:
	s_or_b64 exec, exec, s[8:9]
	s_mov_b64 s[12:13], 0
	s_mov_b64 s[10:11], 0
                                        ; implicit-def: $vgpr1
                                        ; implicit-def: $vgpr4_vgpr5
                                        ; implicit-def: $vgpr2
	s_and_saveexec_b64 s[8:9], s[0:1]
	s_cbranch_execz .LBB18_1003
; %bb.982:
	s_mov_b32 s0, 0x41000000
	s_waitcnt vmcnt(0)
	v_cmp_le_f32_e64 s[0:1], |v7|, s0
                                        ; implicit-def: $vgpr2
	s_and_saveexec_b64 s[10:11], s[0:1]
	s_xor_b64 s[0:1], exec, s[10:11]
	s_cbranch_execz .LBB18_984
; %bb.983:
	v_fma_f32 v1, |v7|, 0.5, -2.0
	v_mov_b32_e32 v2, 0x24199b15
	v_fmac_f32_e32 v2, 0xa2a2e5b9, v1
	v_mov_b32_e32 v3, 0x22a2e5b9
	v_fmac_f32_e32 v3, v1, v2
	v_add_f32_e32 v3, 0xa58c275c, v3
	v_fma_f32 v2, v1, v3, -v2
	v_add_f32_e32 v2, 0x26f736c5, v2
	v_fma_f32 v3, v1, v2, -v3
	;; [unrolled: 2-line block ×22, first 2 shown]
	v_add_f32_e32 v3, 0xbcc274f8, v3
	s_mov_b32 s10, 0x3fb8aa3b
	v_fma_f32 v2, v1, v3, -v2
	v_mul_f32_e64 v4, |v7|, s10
	v_add_f32_e32 v2, 0x3d49f456, v2
	v_rndne_f32_e32 v5, v4
	v_fma_f32 v3, v1, v2, -v3
	v_sub_f32_e32 v8, v4, v5
	v_fma_f32 v4, |v7|, s10, -v4
	s_mov_b32 s10, 0x32a5705f
	v_add_f32_e32 v3, 0xbdc25b82, v3
	v_fma_f32 v4, |v7|, s10, v4
	v_fma_f32 v2, v1, v3, -v2
	v_add_f32_e32 v4, v8, v4
	v_add_f32_e32 v2, 0x3e2fbd64, v2
	v_exp_f32_e32 v4, v4
	v_cvt_i32_f32_e32 v5, v5
	v_fma_f32 v3, v1, v2, -v3
	v_add_f32_e32 v3, 0xbe9bff5e, v3
	v_fma_f32 v1, v1, v3, -v2
	s_mov_b32 s10, 0xc2ce8ed0
	v_add_f32_e32 v1, 0x3f2d4275, v1
	v_ldexp_f32 v3, v4, v5
	v_cmp_nlt_f32_e64 vcc, |v7|, s10
	s_mov_b32 s10, 0x42b17218
	v_cndmask_b32_e32 v3, 0, v3, vcc
	v_mov_b32_e32 v4, 0x7f800000
	v_cmp_ngt_f32_e64 vcc, |v7|, s10
	v_sub_f32_e32 v1, v1, v2
	v_cndmask_b32_e32 v3, v4, v3, vcc
	v_mul_f32_e32 v1, 0.5, v1
	v_mul_f32_e32 v2, v3, v1
                                        ; implicit-def: $vgpr7
.LBB18_984:
	s_andn2_saveexec_b64 s[10:11], s[0:1]
	s_cbranch_execz .LBB18_986
; %bb.985:
	v_and_b32_e32 v1, 0x7fffffff, v7
	s_mov_b32 s12, 0x42000000
	v_div_scale_f32 v2, s[0:1], v1, v1, s12
	v_rcp_f32_e32 v3, v2
	v_div_scale_f32 v1, vcc, s12, v1, s12
	s_mov_b32 s0, 0x3fb8aa3b
	v_fma_f32 v4, -v2, v3, 1.0
	v_fmac_f32_e32 v3, v4, v3
	v_mul_f32_e32 v4, v1, v3
	v_fma_f32 v5, -v2, v4, v1
	v_fmac_f32_e32 v4, v5, v3
	v_fma_f32 v1, -v2, v4, v1
	v_div_fmas_f32 v1, v1, v3, v4
	v_div_fixup_f32 v1, v1, |v7|, s12
	v_add_f32_e32 v1, -2.0, v1
	v_mov_b32_e32 v2, 0xa2b236d3
	v_fmac_f32_e32 v2, 0xa3056dbb, v1
	v_mov_b32_e32 v3, 0x23056dbb
	v_fmac_f32_e32 v3, v1, v2
	v_add_f32_e32 v3, 0x244df0c1, v3
	v_fma_f32 v2, v1, v3, -v2
	v_add_f32_e32 v2, 0x241f9ee8, v2
	v_fma_f32 v3, v1, v2, -v3
	v_add_f32_e32 v3, 0xa5a3005d, v3
	v_fma_f32 v2, v1, v3, -v2
	v_add_f32_e32 v2, 0xa5c5773f, v2
	v_fma_f32 v3, v1, v2, -v3
	v_add_f32_e32 v3, 0x26ff73ed, v3
	v_fma_f32 v2, v1, v3, -v2
	v_add_f32_e32 v2, 0x2789548d, v2
	v_fma_f32 v3, v1, v2, -v3
	v_add_f32_e32 v3, 0xa82c1ff4, v3
	v_fma_f32 v2, v1, v3, -v2
	v_add_f32_e32 v2, 0xa93aecce, v2
	v_fma_f32 v3, v1, v2, -v3
	v_add_f32_e32 v3, 0x288ab7f8, v3
	v_fma_f32 v2, v1, v3, -v2
	v_add_f32_e32 v2, 0x2ad8e463, v2
	v_fma_f32 v3, v1, v2, -v3
	v_add_f32_e32 v3, 0x2b4a1a40, v3
	v_fma_f32 v2, v1, v3, -v2
	v_add_f32_e32 v2, 0xabfc8218, v2
	v_fma_f32 v3, v1, v2, -v3
	v_add_f32_e32 v3, 0xad687eba, v3
	v_fma_f32 v2, v1, v3, -v2
	v_add_f32_e32 v2, 0xae0a88e8, v2
	v_fma_f32 v3, v1, v2, -v3
	v_add_f32_e32 v3, 0x2d5127f5, v3
	v_fma_f32 v2, v1, v3, -v2
	v_add_f32_e32 v2, 0x3007ce66, v2
	v_fma_f32 v3, v1, v2, -v3
	v_add_f32_e32 v3, 0x31696325, v3
	v_fma_f32 v2, v1, v3, -v2
	v_add_f32_e32 v2, 0x32c2b494, v2
	v_mul_f32_e64 v4, |v7|, s0
	v_fma_f32 v3, v1, v2, -v3
	v_rndne_f32_e32 v5, v4
	v_add_f32_e32 v3, 0x345c003f, v3
	v_sub_f32_e32 v8, v4, v5
	v_fma_f32 v4, |v7|, s0, -v4
	s_mov_b32 s0, 0x32a5705f
	v_fma_f32 v2, v1, v3, -v2
	v_fma_f32 v4, |v7|, s0, v4
	v_add_f32_e32 v2, 0x3642095e, v2
	v_add_f32_e32 v4, v8, v4
	v_fma_f32 v3, v1, v2, -v3
	v_exp_f32_e32 v4, v4
	v_cvt_i32_f32_e32 v5, v5
	v_add_f32_e32 v3, 0x38907d1c, v3
	v_fma_f32 v2, v1, v3, -v2
	v_add_f32_e32 v2, 0x3b5ccc65, v2
	s_mov_b32 s0, 0xc2ce8ed0
	v_fma_f32 v1, v1, v2, -v3
	v_ldexp_f32 v2, v4, v5
	v_cmp_nlt_f32_e64 vcc, |v7|, s0
	s_mov_b32 s0, 0x42b17218
	v_cndmask_b32_e32 v2, 0, v2, vcc
	v_mov_b32_e32 v4, 0x7f800000
	v_cmp_ngt_f32_e64 vcc, |v7|, s0
	s_mov_b32 s0, 0xf800000
	s_mov_b32 s1, 0x4f800000
	v_cndmask_b32_e32 v2, v4, v2, vcc
	v_mul_f32_e64 v4, |v7|, s1
	v_cmp_lt_f32_e64 vcc, |v7|, s0
	v_cndmask_b32_e64 v4, |v7|, v4, vcc
	v_sqrt_f32_e32 v5, v4
	v_add_f32_e32 v1, 0x3f4df315, v1
	v_sub_f32_e32 v1, v1, v3
	v_mul_f32_e32 v1, 0.5, v1
	v_mul_f32_e32 v1, v2, v1
	v_add_u32_e32 v2, -1, v5
	v_fma_f32 v3, -v2, v5, v4
	v_cmp_ge_f32_e64 s[0:1], 0, v3
	v_add_u32_e32 v3, 1, v5
	v_cndmask_b32_e64 v2, v5, v2, s[0:1]
	v_fma_f32 v5, -v3, v5, v4
	v_cmp_lt_f32_e64 s[0:1], 0, v5
	v_cndmask_b32_e64 v2, v2, v3, s[0:1]
	v_mul_f32_e32 v3, 0x37800000, v2
	v_cndmask_b32_e32 v2, v2, v3, vcc
	v_mov_b32_e32 v3, 0x260
	v_cmp_class_f32_e32 vcc, v4, v3
	v_cndmask_b32_e32 v2, v2, v4, vcc
	v_div_scale_f32 v3, s[0:1], v2, v2, v1
	v_rcp_f32_e32 v4, v3
	v_fma_f32 v5, -v3, v4, 1.0
	v_fmac_f32_e32 v4, v5, v4
	v_div_scale_f32 v5, vcc, v1, v2, v1
	v_mul_f32_e32 v7, v5, v4
	v_fma_f32 v8, -v3, v7, v5
	v_fmac_f32_e32 v7, v8, v4
	v_fma_f32 v3, -v3, v7, v5
	v_div_fmas_f32 v3, v3, v4, v7
	v_div_fixup_f32 v2, v3, v2, v1
.LBB18_986:
	s_or_b64 exec, exec, s[10:11]
	s_waitcnt lgkmcnt(0)
	v_mov_b32_e32 v1, s25
	v_add_co_u32_e32 v4, vcc, s24, v0
	v_addc_co_u32_e32 v5, vcc, 0, v1, vcc
	v_and_b32_e32 v1, 0xff, v6
	v_cmp_gt_i16_e32 vcc, 11, v1
	s_cbranch_vccnz .LBB18_1006
; %bb.987:
	v_cmp_lt_i16_e32 vcc, 25, v1
	s_mov_b64 s[12:13], -1
	s_mov_b64 s[0:1], s[52:53]
	s_cbranch_vccz .LBB18_1024
; %bb.988:
	v_cmp_lt_i16_e32 vcc, 28, v1
	s_mov_b64 s[10:11], -1
	s_mov_b64 s[0:1], s[52:53]
	s_cbranch_vccz .LBB18_1008
; %bb.989:
	v_cmp_lt_i16_e32 vcc, 43, v1
	s_mov_b64 s[0:1], s[52:53]
	s_cbranch_vccz .LBB18_1000
; %bb.990:
	v_cmp_lt_i16_e32 vcc, 45, v1
	s_mov_b64 s[0:1], s[52:53]
	s_cbranch_vccz .LBB18_994
; %bb.991:
	v_cmp_eq_u16_e32 vcc, 46, v1
	s_mov_b64 s[0:1], -1
	s_cbranch_vccz .LBB18_993
; %bb.992:
	v_bfe_u32 v0, v2, 16, 1
	s_movk_i32 s0, 0x7fff
	v_add3_u32 v0, v2, v0, s0
	v_lshrrev_b32_e32 v0, 16, v0
	v_mov_b32_e32 v3, 0x7fc0
	v_cmp_o_f32_e32 vcc, v2, v2
	v_cndmask_b32_e32 v0, v3, v0, vcc
	global_store_dword v[4:5], v0, off
	s_mov_b64 s[0:1], 0
.LBB18_993:
	s_mov_b64 s[10:11], 0
.LBB18_994:
	s_and_b64 vcc, exec, s[10:11]
	s_cbranch_vccz .LBB18_999
; %bb.995:
	v_cmp_eq_u16_e32 vcc, 44, v1
	s_mov_b64 s[0:1], -1
	s_cbranch_vccz .LBB18_999
; %bb.996:
	v_bfe_u32 v0, v2, 23, 8
	s_movk_i32 s0, 0xff
	v_cmp_ne_u32_e32 vcc, s0, v0
	v_mov_b32_e32 v3, 0xff
	s_and_saveexec_b64 s[10:11], vcc
; %bb.997:
	s_mov_b32 s0, 0x3fffff
	v_and_b32_e32 v6, 0x400000, v2
	v_and_or_b32 v0, v2, s0, v0
	v_cmp_ne_u32_e32 vcc, 0, v6
	v_cmp_ne_u32_e64 s[0:1], 0, v0
	s_and_b64 s[0:1], vcc, s[0:1]
	v_lshrrev_b32_e32 v3, 23, v2
	v_cndmask_b32_e64 v0, 0, 1, s[0:1]
	v_add_u32_e32 v3, v3, v0
; %bb.998:
	s_or_b64 exec, exec, s[10:11]
	s_mov_b64 s[0:1], 0
	global_store_byte v[4:5], v3, off
.LBB18_999:
	s_mov_b64 s[10:11], 0
.LBB18_1000:
	s_and_b64 vcc, exec, s[10:11]
	s_cbranch_vccz .LBB18_1007
; %bb.1001:
	v_cmp_eq_u16_e32 vcc, 29, v1
	s_mov_b64 s[0:1], -1
	s_cbranch_vccz .LBB18_1007
; %bb.1002:
	v_trunc_f32_e32 v0, v2
	v_mul_f32_e32 v3, 0x2f800000, v0
	v_floor_f32_e32 v3, v3
	v_fmac_f32_e32 v0, 0xcf800000, v3
	v_cvt_u32_f32_e32 v7, v3
	v_cvt_u32_f32_e32 v6, v0
	s_mov_b64 s[0:1], 0
	s_mov_b64 s[10:11], 0
	global_store_dwordx2 v[4:5], v[6:7], off
	s_branch .LBB18_1008
.LBB18_1003:
	s_or_b64 exec, exec, s[8:9]
	s_and_saveexec_b64 s[0:1], s[52:53]
	s_cbranch_execnz .LBB18_1066
.LBB18_1004:
	s_or_b64 exec, exec, s[0:1]
	s_and_saveexec_b64 s[0:1], s[12:13]
	s_xor_b64 s[0:1], exec, s[0:1]
	s_cbranch_execz .LBB18_1067
.LBB18_1005:
	v_cmp_neq_f32_e32 vcc, 0, v2
	v_cndmask_b32_e64 v0, 0, 1, vcc
	global_store_byte v[4:5], v0, off
	s_or_b64 exec, exec, s[0:1]
	s_and_saveexec_b64 s[0:1], s[10:11]
	s_xor_b64 s[0:1], exec, s[0:1]
	s_cbranch_execz .LBB18_1105
	s_branch .LBB18_1068
.LBB18_1006:
	s_mov_b64 s[12:13], 0
	s_mov_b64 s[10:11], -1
	s_mov_b64 s[0:1], s[52:53]
	s_branch .LBB18_1065
.LBB18_1007:
	s_mov_b64 s[10:11], 0
.LBB18_1008:
	s_and_b64 vcc, exec, s[10:11]
	s_cbranch_vccz .LBB18_1023
; %bb.1009:
	v_cmp_gt_i16_e32 vcc, 27, v1
	s_mov_b64 s[10:11], -1
	s_cbranch_vccnz .LBB18_1015
; %bb.1010:
	v_cmp_lt_i16_e32 vcc, 27, v1
	s_cbranch_vccz .LBB18_1012
; %bb.1011:
	v_cvt_u32_f32_e32 v0, v2
	s_mov_b64 s[10:11], 0
	global_store_dword v[4:5], v0, off
.LBB18_1012:
	s_andn2_b64 vcc, exec, s[10:11]
	s_cbranch_vccnz .LBB18_1014
; %bb.1013:
	v_cvt_u32_f32_e32 v0, v2
	global_store_short v[4:5], v0, off
.LBB18_1014:
	s_mov_b64 s[10:11], 0
.LBB18_1015:
	s_andn2_b64 vcc, exec, s[10:11]
	s_cbranch_vccnz .LBB18_1023
; %bb.1016:
	v_and_b32_e32 v0, 0x7fffffff, v2
	s_mov_b32 s10, 0x43800000
	v_cmp_gt_u32_e32 vcc, s10, v0
	v_mov_b32_e32 v3, 0x80
	s_and_saveexec_b64 s[10:11], vcc
	s_cbranch_execz .LBB18_1022
; %bb.1017:
	s_mov_b32 s12, 0x3bffffff
	v_cmp_lt_u32_e32 vcc, s12, v0
	s_mov_b64 s[12:13], 0
                                        ; implicit-def: $vgpr0
	s_and_saveexec_b64 s[14:15], vcc
	s_xor_b64 s[14:15], exec, s[14:15]
	s_cbranch_execz .LBB18_1176
; %bb.1018:
	v_bfe_u32 v0, v2, 20, 1
	s_mov_b32 s16, 0x487ffff
	v_add3_u32 v0, v2, v0, s16
	s_mov_b64 s[12:13], exec
	v_lshrrev_b32_e32 v0, 20, v0
	s_or_saveexec_b64 s[14:15], s[14:15]
                                        ; implicit-def: $sgpr16
	s_xor_b64 exec, exec, s[14:15]
	s_cbranch_execnz .LBB18_1177
.LBB18_1019:
	s_or_b64 exec, exec, s[14:15]
	v_mov_b32_e32 v3, s16
	s_and_saveexec_b64 s[14:15], s[12:13]
.LBB18_1020:
	v_lshrrev_b32_e32 v3, 24, v2
	s_movk_i32 s12, 0x80
	v_and_or_b32 v3, v3, s12, v0
.LBB18_1021:
	s_or_b64 exec, exec, s[14:15]
.LBB18_1022:
	s_or_b64 exec, exec, s[10:11]
	global_store_byte v[4:5], v3, off
.LBB18_1023:
	s_mov_b64 s[12:13], 0
.LBB18_1024:
	s_mov_b64 s[10:11], 0
	s_and_b64 vcc, exec, s[12:13]
	s_cbranch_vccz .LBB18_1064
; %bb.1025:
	v_cmp_lt_i16_e32 vcc, 22, v1
	s_mov_b64 s[12:13], -1
	s_cbranch_vccz .LBB18_1057
; %bb.1026:
	v_cmp_gt_i16_e32 vcc, 24, v1
	s_cbranch_vccnz .LBB18_1046
; %bb.1027:
	v_cmp_lt_i16_e32 vcc, 24, v1
	s_cbranch_vccz .LBB18_1035
; %bb.1028:
	v_and_b32_e32 v0, 0x7fffffff, v2
	s_mov_b32 s12, 0x47800000
	v_cmp_gt_u32_e32 vcc, s12, v0
	v_mov_b32_e32 v3, 0x80
	s_and_saveexec_b64 s[12:13], vcc
	s_cbranch_execz .LBB18_1034
; %bb.1029:
	s_mov_b32 s14, 0x37ffffff
	v_cmp_lt_u32_e32 vcc, s14, v0
	s_mov_b64 s[14:15], 0
                                        ; implicit-def: $vgpr0
	s_and_saveexec_b64 s[16:17], vcc
	s_xor_b64 s[16:17], exec, s[16:17]
	s_cbranch_execz .LBB18_1305
; %bb.1030:
	v_bfe_u32 v0, v2, 21, 1
	s_mov_b32 s18, 0x88fffff
	v_add3_u32 v0, v2, v0, s18
	s_mov_b64 s[14:15], exec
	v_lshrrev_b32_e32 v0, 21, v0
	s_or_saveexec_b64 s[16:17], s[16:17]
                                        ; implicit-def: $sgpr18
	s_xor_b64 exec, exec, s[16:17]
	s_cbranch_execnz .LBB18_1306
.LBB18_1031:
	s_or_b64 exec, exec, s[16:17]
	v_mov_b32_e32 v3, s18
	s_and_saveexec_b64 s[16:17], s[14:15]
.LBB18_1032:
	v_lshrrev_b32_e32 v3, 24, v2
	s_movk_i32 s14, 0x80
	v_and_or_b32 v3, v3, s14, v0
.LBB18_1033:
	s_or_b64 exec, exec, s[16:17]
.LBB18_1034:
	s_or_b64 exec, exec, s[12:13]
	s_mov_b64 s[12:13], 0
	global_store_byte v[4:5], v3, off
.LBB18_1035:
	s_and_b64 vcc, exec, s[12:13]
	s_cbranch_vccz .LBB18_1045
; %bb.1036:
	v_and_b32_e32 v3, 0x7fffffff, v2
	s_mov_b32 s12, 0x43f00000
	v_cmp_gt_u32_e32 vcc, s12, v3
                                        ; implicit-def: $vgpr0
	s_and_saveexec_b64 s[12:13], vcc
	s_xor_b64 s[12:13], exec, s[12:13]
	s_cbranch_execz .LBB18_1042
; %bb.1037:
	s_mov_b32 s14, 0x3c7fffff
	v_cmp_lt_u32_e32 vcc, s14, v3
                                        ; implicit-def: $vgpr0
	s_and_saveexec_b64 s[14:15], vcc
	s_xor_b64 s[14:15], exec, s[14:15]
; %bb.1038:
	v_bfe_u32 v0, v2, 20, 1
	s_mov_b32 s16, 0x407ffff
	v_add3_u32 v0, v2, v0, s16
	v_lshrrev_b32_e32 v3, 20, v0
	v_and_b32_e32 v0, 0xff00000, v0
	s_mov_b32 s16, 0x7f00000
	v_mov_b32_e32 v6, 0x7e
	v_cmp_ne_u32_e32 vcc, s16, v0
	v_cndmask_b32_e32 v0, v6, v3, vcc
; %bb.1039:
	s_andn2_saveexec_b64 s[14:15], s[14:15]
; %bb.1040:
	s_mov_b32 s16, 0x46800000
	v_add_f32_e64 v0, |v2|, s16
; %bb.1041:
	s_or_b64 exec, exec, s[14:15]
                                        ; implicit-def: $vgpr3
.LBB18_1042:
	s_andn2_saveexec_b64 s[12:13], s[12:13]
; %bb.1043:
	s_mov_b32 s14, 0x7f800000
	v_mov_b32_e32 v0, 0x7e
	v_mov_b32_e32 v6, 0x7f
	v_cmp_lt_u32_e32 vcc, s14, v3
	v_cndmask_b32_e32 v0, v0, v6, vcc
; %bb.1044:
	s_or_b64 exec, exec, s[12:13]
	v_lshrrev_b32_e32 v3, 24, v2
	s_movk_i32 s12, 0x80
	v_and_or_b32 v0, v3, s12, v0
	global_store_byte v[4:5], v0, off
.LBB18_1045:
	s_mov_b64 s[12:13], 0
.LBB18_1046:
	s_andn2_b64 vcc, exec, s[12:13]
	s_cbranch_vccnz .LBB18_1056
; %bb.1047:
	v_and_b32_e32 v3, 0x7fffffff, v2
	s_mov_b32 s12, 0x47800000
	v_cmp_gt_u32_e32 vcc, s12, v3
                                        ; implicit-def: $vgpr0
	s_and_saveexec_b64 s[12:13], vcc
	s_xor_b64 s[12:13], exec, s[12:13]
	s_cbranch_execz .LBB18_1053
; %bb.1048:
	s_mov_b32 s14, 0x387fffff
	v_cmp_lt_u32_e32 vcc, s14, v3
                                        ; implicit-def: $vgpr0
	s_and_saveexec_b64 s[14:15], vcc
	s_xor_b64 s[14:15], exec, s[14:15]
; %bb.1049:
	v_bfe_u32 v0, v2, 21, 1
	s_mov_b32 s16, 0x80fffff
	v_add3_u32 v0, v2, v0, s16
	v_lshrrev_b32_e32 v0, 21, v0
; %bb.1050:
	s_andn2_saveexec_b64 s[14:15], s[14:15]
; %bb.1051:
	s_mov_b32 s16, 0x43000000
	v_add_f32_e64 v0, |v2|, s16
; %bb.1052:
	s_or_b64 exec, exec, s[14:15]
                                        ; implicit-def: $vgpr3
.LBB18_1053:
	s_andn2_saveexec_b64 s[12:13], s[12:13]
; %bb.1054:
	s_mov_b32 s14, 0x7f800000
	v_mov_b32_e32 v0, 0x7c
	v_mov_b32_e32 v6, 0x7f
	v_cmp_lt_u32_e32 vcc, s14, v3
	v_cndmask_b32_e32 v0, v0, v6, vcc
; %bb.1055:
	s_or_b64 exec, exec, s[12:13]
	v_lshrrev_b32_e32 v3, 24, v2
	s_movk_i32 s12, 0x80
	v_and_or_b32 v0, v3, s12, v0
	global_store_byte v[4:5], v0, off
.LBB18_1056:
	s_mov_b64 s[12:13], 0
.LBB18_1057:
	s_andn2_b64 vcc, exec, s[12:13]
	s_mov_b64 s[12:13], 0
	s_cbranch_vccnz .LBB18_1065
; %bb.1058:
	v_cmp_lt_i16_e32 vcc, 14, v1
	s_mov_b64 s[14:15], -1
	s_cbranch_vccz .LBB18_1062
; %bb.1059:
	v_cmp_eq_u16_e32 vcc, 15, v1
	s_mov_b64 s[0:1], -1
	s_cbranch_vccz .LBB18_1061
; %bb.1060:
	v_bfe_u32 v0, v2, 16, 1
	s_movk_i32 s0, 0x7fff
	v_add3_u32 v0, v2, v0, s0
	v_lshrrev_b32_e32 v0, 16, v0
	v_mov_b32_e32 v3, 0x7fc0
	v_cmp_o_f32_e32 vcc, v2, v2
	v_cndmask_b32_e32 v0, v3, v0, vcc
	global_store_short v[4:5], v0, off
	s_mov_b64 s[0:1], 0
.LBB18_1061:
	s_mov_b64 s[14:15], 0
.LBB18_1062:
	s_and_b64 vcc, exec, s[14:15]
	s_cbranch_vccz .LBB18_1065
; %bb.1063:
	v_cmp_ne_u16_e32 vcc, 11, v1
	s_andn2_b64 s[0:1], s[0:1], exec
	s_and_b64 s[14:15], vcc, exec
	s_mov_b64 s[12:13], -1
	s_or_b64 s[0:1], s[0:1], s[14:15]
	s_branch .LBB18_1065
.LBB18_1064:
	s_mov_b64 s[12:13], 0
.LBB18_1065:
	s_andn2_b64 s[14:15], s[52:53], exec
	s_and_b64 s[0:1], s[0:1], exec
	s_and_b64 s[10:11], s[10:11], exec
	;; [unrolled: 1-line block ×3, first 2 shown]
	s_or_b64 s[52:53], s[14:15], s[0:1]
	s_or_b64 exec, exec, s[8:9]
	s_and_saveexec_b64 s[0:1], s[52:53]
	s_cbranch_execz .LBB18_1004
.LBB18_1066:
	s_or_b64 s[2:3], s[2:3], exec
	s_andn2_b64 s[12:13], s[12:13], exec
	s_trap 2
	s_or_b64 exec, exec, s[0:1]
	s_and_saveexec_b64 s[0:1], s[12:13]
	s_xor_b64 s[0:1], exec, s[0:1]
	s_cbranch_execnz .LBB18_1005
.LBB18_1067:
	s_or_b64 exec, exec, s[0:1]
	s_and_saveexec_b64 s[0:1], s[10:11]
	s_xor_b64 s[0:1], exec, s[0:1]
	s_cbranch_execz .LBB18_1105
.LBB18_1068:
	s_waitcnt vmcnt(0)
	v_cmp_gt_i16_e32 vcc, 5, v1
	s_mov_b64 s[8:9], -1
	s_cbranch_vccnz .LBB18_1089
; %bb.1069:
	v_cmp_gt_i16_e32 vcc, 8, v1
	s_cbranch_vccnz .LBB18_1079
; %bb.1070:
	v_cmp_gt_i16_e32 vcc, 9, v1
	s_cbranch_vccnz .LBB18_1076
; %bb.1071:
	v_cmp_lt_i16_e32 vcc, 9, v1
	s_cbranch_vccz .LBB18_1073
; %bb.1072:
	v_mov_b32_e32 v8, 0
	v_cvt_f64_f32_e32 v[6:7], v2
	v_mov_b32_e32 v9, v8
	s_mov_b64 s[8:9], 0
	global_store_dwordx4 v[4:5], v[6:9], off
.LBB18_1073:
	s_andn2_b64 vcc, exec, s[8:9]
	s_cbranch_vccnz .LBB18_1075
; %bb.1074:
	v_mov_b32_e32 v3, 0
	global_store_dwordx2 v[4:5], v[2:3], off
.LBB18_1075:
	s_mov_b64 s[8:9], 0
.LBB18_1076:
	s_andn2_b64 vcc, exec, s[8:9]
	s_cbranch_vccnz .LBB18_1078
; %bb.1077:
	v_cvt_f16_f32_e32 v0, v2
	global_store_dword v[4:5], v0, off
.LBB18_1078:
	s_mov_b64 s[8:9], 0
.LBB18_1079:
	s_andn2_b64 vcc, exec, s[8:9]
	s_cbranch_vccnz .LBB18_1088
; %bb.1080:
	v_cmp_gt_i16_e32 vcc, 6, v1
	s_mov_b64 s[8:9], -1
	s_cbranch_vccnz .LBB18_1086
; %bb.1081:
	v_cmp_lt_i16_e32 vcc, 6, v1
	s_cbranch_vccz .LBB18_1083
; %bb.1082:
	v_cvt_f64_f32_e32 v[6:7], v2
	s_mov_b64 s[8:9], 0
	global_store_dwordx2 v[4:5], v[6:7], off
.LBB18_1083:
	s_andn2_b64 vcc, exec, s[8:9]
	s_cbranch_vccnz .LBB18_1085
; %bb.1084:
	global_store_dword v[4:5], v2, off
.LBB18_1085:
	s_mov_b64 s[8:9], 0
.LBB18_1086:
	s_andn2_b64 vcc, exec, s[8:9]
	s_cbranch_vccnz .LBB18_1088
; %bb.1087:
	v_cvt_f16_f32_e32 v0, v2
	global_store_short v[4:5], v0, off
.LBB18_1088:
	s_mov_b64 s[8:9], 0
.LBB18_1089:
	s_andn2_b64 vcc, exec, s[8:9]
	s_cbranch_vccnz .LBB18_1105
; %bb.1090:
	v_cmp_gt_i16_e32 vcc, 2, v1
	s_mov_b64 s[8:9], -1
	s_cbranch_vccnz .LBB18_1100
; %bb.1091:
	v_cmp_gt_i16_e32 vcc, 3, v1
	s_cbranch_vccnz .LBB18_1097
; %bb.1092:
	v_cmp_lt_i16_e32 vcc, 3, v1
	s_cbranch_vccz .LBB18_1094
; %bb.1093:
	v_trunc_f32_e32 v0, v2
	s_mov_b32 s8, 0x2f800000
	v_mul_f32_e64 v3, |v0|, s8
	v_floor_f32_e32 v3, v3
	s_mov_b32 s8, 0xcf800000
	v_cvt_u32_f32_e32 v6, v3
	v_fma_f32 v3, v3, s8, |v0|
	v_cvt_u32_f32_e32 v3, v3
	v_ashrrev_i32_e32 v0, 31, v0
	v_xor_b32_e32 v7, v6, v0
	s_mov_b64 s[8:9], 0
	v_xor_b32_e32 v3, v3, v0
	v_sub_co_u32_e32 v6, vcc, v3, v0
	v_subb_co_u32_e32 v7, vcc, v7, v0, vcc
	global_store_dwordx2 v[4:5], v[6:7], off
.LBB18_1094:
	s_andn2_b64 vcc, exec, s[8:9]
	s_cbranch_vccnz .LBB18_1096
; %bb.1095:
	v_cvt_i32_f32_e32 v0, v2
	global_store_dword v[4:5], v0, off
.LBB18_1096:
	s_mov_b64 s[8:9], 0
.LBB18_1097:
	s_andn2_b64 vcc, exec, s[8:9]
	s_cbranch_vccnz .LBB18_1099
; %bb.1098:
	v_cvt_i32_f32_e32 v0, v2
	global_store_short v[4:5], v0, off
.LBB18_1099:
	s_mov_b64 s[8:9], 0
.LBB18_1100:
	s_andn2_b64 vcc, exec, s[8:9]
	s_cbranch_vccnz .LBB18_1105
; %bb.1101:
	v_cmp_lt_i16_e32 vcc, 0, v1
	s_mov_b64 s[8:9], -1
	s_cbranch_vccz .LBB18_1103
; %bb.1102:
	v_cvt_i32_f32_e32 v0, v2
	s_mov_b64 s[8:9], 0
	global_store_byte v[4:5], v0, off
.LBB18_1103:
	s_andn2_b64 vcc, exec, s[8:9]
	s_cbranch_vccnz .LBB18_1105
; %bb.1104:
	v_trunc_f32_e32 v0, v2
	s_mov_b32 s8, 0x2f800000
	v_mul_f32_e64 v1, |v0|, s8
	v_floor_f32_e32 v1, v1
	s_mov_b32 s8, 0xcf800000
	v_fma_f32 v1, v1, s8, |v0|
	v_cvt_u32_f32_e32 v1, v1
	v_ashrrev_i32_e32 v0, 31, v0
	v_xor_b32_e32 v1, v1, v0
	v_sub_u32_e32 v0, v1, v0
	global_store_byte v[4:5], v0, off
.LBB18_1105:
	s_or_b64 exec, exec, s[0:1]
	s_waitcnt lgkmcnt(0)
	s_and_b64 s[28:29], s[2:3], exec
                                        ; implicit-def: $vgpr15
                                        ; implicit-def: $vgpr12
.LBB18_1106:
	s_or_saveexec_b64 s[30:31], s[42:43]
	s_mov_b64 s[0:1], 0
                                        ; implicit-def: $vgpr0_vgpr1
                                        ; implicit-def: $vgpr2
                                        ; implicit-def: $vgpr14
	s_xor_b64 exec, exec, s[30:31]
	s_cbranch_execz .LBB18_1701
; %bb.1107:
	v_cndmask_b32_e64 v0, 0, 1, s[40:41]
	v_cmp_ne_u32_e64 s[0:1], 1, v0
	s_andn2_b64 vcc, exec, s[40:41]
	s_cbranch_vccnz .LBB18_1114
; %bb.1108:
	s_mov_b32 s2, 0
	s_cmp_lg_u32 s33, 0
	v_mov_b32_e32 v8, 0
	v_mov_b32_e32 v6, 0
	s_cbranch_scc0 .LBB18_1113
; %bb.1109:
	s_min_u32 s38, s74, 15
	s_add_i32 s38, s38, 1
	s_cmp_eq_u32 s74, 2
	s_cbranch_scc1 .LBB18_1115
; %bb.1110:
	s_add_u32 s6, s34, 0xc4
	s_addc_u32 s7, s35, 0
	s_and_b32 s2, s38, 28
	s_mov_b32 s3, 0
	v_mov_b32_e32 v6, 0
	s_mov_b64 s[36:37], s[34:35]
	v_mov_b32_e32 v0, v12
	v_mov_b32_e32 v8, 0
.LBB18_1111:                            ; =>This Inner Loop Header: Depth=1
	s_load_dwordx8 s[16:23], s[36:37], 0x4
	s_load_dwordx4 s[24:27], s[36:37], 0x24
	s_load_dwordx8 s[8:15], s[6:7], 0x0
	s_add_u32 s36, s36, 48
	s_addc_u32 s37, s37, 0
	s_waitcnt vmcnt(0) lgkmcnt(0)
	v_mul_hi_u32 v1, s17, v0
	v_add_u32_e32 v1, v0, v1
	v_lshrrev_b32_e32 v1, s18, v1
	v_mul_lo_u32 v2, v1, s16
	v_mul_hi_u32 v3, s20, v1
	v_sub_u32_e32 v0, v0, v2
	v_add_u32_e32 v2, v1, v3
	v_lshrrev_b32_e32 v2, s21, v2
	v_mul_lo_u32 v4, v2, s19
	v_mul_hi_u32 v5, s23, v2
	v_sub_u32_e32 v1, v1, v4
	v_add_u32_e32 v4, v2, v5
	v_mul_lo_u32 v3, v0, s9
	v_mul_lo_u32 v0, v0, s8
	;; [unrolled: 1-line block ×4, first 2 shown]
	v_lshrrev_b32_e32 v4, s24, v4
	v_add3_u32 v1, v0, v6, v1
	v_add3_u32 v3, v3, v8, v5
	v_mul_lo_u32 v0, v4, s22
	v_mul_hi_u32 v5, s26, v4
	v_sub_u32_e32 v0, v2, v0
	v_add_u32_e32 v2, v4, v5
	v_mul_lo_u32 v5, v0, s12
	v_mul_lo_u32 v6, v0, s13
	v_lshrrev_b32_e32 v0, s27, v2
	s_add_i32 s3, s3, 4
	v_mul_lo_u32 v2, v0, s25
	s_add_u32 s6, s6, 32
	v_sub_u32_e32 v2, v4, v2
	s_addc_u32 s7, s7, 0
	v_mul_lo_u32 v4, v2, s14
	v_mul_lo_u32 v2, v2, s15
	s_cmp_lg_u32 s2, s3
	v_add3_u32 v8, v6, v3, v2
	v_add3_u32 v6, v5, v1, v4
	s_cbranch_scc1 .LBB18_1111
; %bb.1112:
	v_mov_b32_e32 v7, v8
	s_and_b32 s8, s38, 3
	s_cmp_eq_u32 s8, 0
	s_cbranch_scc0 .LBB18_1116
.LBB18_1113:
	s_cbranch_execz .LBB18_1119
	s_branch .LBB18_1121
.LBB18_1114:
                                        ; implicit-def: $vgpr8
                                        ; implicit-def: $vgpr6
	s_branch .LBB18_1119
.LBB18_1115:
	s_mov_b32 s3, s2
	s_waitcnt vmcnt(0)
	v_pk_mov_b32 v[6:7], s[2:3], s[2:3] op_sel:[0,1]
                                        ; implicit-def: $vgpr8
	v_mov_b32_e32 v0, v12
	s_and_b32 s8, s38, 3
	s_cmp_eq_u32 s8, 0
	s_cbranch_scc1 .LBB18_1113
.LBB18_1116:
	s_lshl_b32 s3, s2, 3
	s_add_u32 s3, s3, s34
	s_addc_u32 s7, 0, s35
	s_add_u32 s6, s3, 0xc4
	s_addc_u32 s7, s7, 0
	s_mul_i32 s2, s2, 12
	s_add_u32 s2, s34, s2
	s_addc_u32 s3, 0, s35
.LBB18_1117:                            ; =>This Inner Loop Header: Depth=1
	s_load_dwordx2 s[10:11], s[2:3], 0x4
	s_load_dword s9, s[2:3], 0xc
	s_load_dwordx2 s[12:13], s[6:7], 0x0
	s_add_u32 s2, s2, 12
	s_addc_u32 s3, s3, 0
	s_waitcnt lgkmcnt(0)
	v_mul_hi_u32 v1, s11, v0
	v_add_u32_e32 v1, v0, v1
	v_lshrrev_b32_e32 v1, s9, v1
	v_mul_lo_u32 v3, v1, s10
	v_mov_b32_e32 v2, v7
	s_add_u32 s6, s6, 8
	v_sub_u32_e32 v4, v0, v3
	s_addc_u32 s7, s7, 0
	s_add_i32 s8, s8, -1
	v_mad_u64_u32 v[2:3], s[10:11], v4, s13, v[2:3]
	v_mad_u64_u32 v[6:7], s[10:11], v4, s12, v[6:7]
	s_cmp_lg_u32 s8, 0
	v_mov_b32_e32 v0, v1
	v_mov_b32_e32 v7, v2
	s_cbranch_scc1 .LBB18_1117
; %bb.1118:
	v_mov_b32_e32 v8, v7
	s_cbranch_execnz .LBB18_1121
.LBB18_1119:
	s_load_dwordx4 s[8:11], s[34:35], 0x4
	s_load_dwordx2 s[2:3], s[34:35], 0xc4
	s_cmp_lt_u32 s33, 2
	s_waitcnt lgkmcnt(0)
	v_mul_hi_u32 v0, s9, v12
	v_add_u32_e32 v0, v12, v0
	v_lshrrev_b32_e32 v0, s10, v0
	s_waitcnt vmcnt(0)
	v_mul_lo_u32 v1, v0, s8
	v_sub_u32_e32 v1, v12, v1
	v_mul_lo_u32 v8, v1, s3
	v_mul_lo_u32 v6, v1, s2
	s_cbranch_scc1 .LBB18_1121
; %bb.1120:
	s_load_dwordx4 s[8:11], s[34:35], 0x10
	s_load_dwordx2 s[2:3], s[34:35], 0xcc
	s_waitcnt lgkmcnt(0)
	v_mul_hi_u32 v1, s9, v0
	v_add_u32_e32 v1, v0, v1
	v_lshrrev_b32_e32 v1, s10, v1
	v_mul_lo_u32 v1, v1, s8
	v_sub_u32_e32 v0, v0, v1
	v_mad_u64_u32 v[6:7], s[6:7], v0, s2, v[6:7]
	v_mad_u64_u32 v[8:9], s[2:3], v0, s3, v[8:9]
.LBB18_1121:
	s_and_b64 vcc, exec, s[0:1]
	v_add_u32_e32 v0, 0x80, v12
	s_cbranch_vccnz .LBB18_1128
; %bb.1122:
	s_mov_b32 s2, 0
	s_cmp_lg_u32 s33, 0
	v_mov_b32_e32 v10, 0
	v_mov_b32_e32 v4, 0
	s_cbranch_scc0 .LBB18_1127
; %bb.1123:
	s_min_u32 s38, s74, 15
	s_add_i32 s38, s38, 1
	s_cmp_eq_u32 s74, 2
	s_cbranch_scc1 .LBB18_1129
; %bb.1124:
	s_add_u32 s6, s34, 0xc4
	s_addc_u32 s7, s35, 0
	s_and_b32 s2, s38, 28
	s_mov_b32 s3, 0
	v_mov_b32_e32 v4, 0
	s_mov_b64 s[36:37], s[34:35]
	s_waitcnt vmcnt(0)
	v_mov_b32_e32 v1, v0
	v_mov_b32_e32 v10, 0
.LBB18_1125:                            ; =>This Inner Loop Header: Depth=1
	s_load_dwordx8 s[16:23], s[36:37], 0x4
	s_load_dwordx4 s[24:27], s[36:37], 0x24
	s_load_dwordx8 s[8:15], s[6:7], 0x0
	s_add_u32 s36, s36, 48
	s_addc_u32 s37, s37, 0
	s_waitcnt lgkmcnt(0)
	v_mul_hi_u32 v2, s17, v1
	v_add_u32_e32 v2, v1, v2
	v_lshrrev_b32_e32 v2, s18, v2
	v_mul_lo_u32 v3, v2, s16
	v_mul_hi_u32 v5, s20, v2
	v_sub_u32_e32 v1, v1, v3
	v_add_u32_e32 v3, v2, v5
	v_lshrrev_b32_e32 v3, s21, v3
	v_mul_lo_u32 v7, v3, s19
	v_mul_hi_u32 v9, s23, v3
	v_sub_u32_e32 v2, v2, v7
	v_add_u32_e32 v7, v3, v9
	v_mul_lo_u32 v5, v1, s9
	v_mul_lo_u32 v1, v1, s8
	;; [unrolled: 1-line block ×4, first 2 shown]
	v_lshrrev_b32_e32 v7, s24, v7
	v_add3_u32 v2, v1, v4, v2
	v_add3_u32 v4, v5, v10, v9
	v_mul_lo_u32 v1, v7, s22
	v_mul_hi_u32 v5, s26, v7
	v_sub_u32_e32 v1, v3, v1
	v_add_u32_e32 v3, v7, v5
	v_mul_lo_u32 v5, v1, s12
	v_mul_lo_u32 v9, v1, s13
	v_lshrrev_b32_e32 v1, s27, v3
	s_add_i32 s3, s3, 4
	v_mul_lo_u32 v3, v1, s25
	s_add_u32 s6, s6, 32
	v_sub_u32_e32 v3, v7, v3
	s_addc_u32 s7, s7, 0
	v_mul_lo_u32 v7, v3, s14
	v_mul_lo_u32 v3, v3, s15
	s_cmp_lg_u32 s2, s3
	v_add3_u32 v10, v9, v4, v3
	v_add3_u32 v4, v5, v2, v7
	s_cbranch_scc1 .LBB18_1125
; %bb.1126:
	v_mov_b32_e32 v5, v10
	s_and_b32 s8, s38, 3
	s_cmp_eq_u32 s8, 0
	s_cbranch_scc0 .LBB18_1130
.LBB18_1127:
	s_cbranch_execz .LBB18_1133
	s_branch .LBB18_1135
.LBB18_1128:
                                        ; implicit-def: $vgpr10
                                        ; implicit-def: $vgpr4
	s_branch .LBB18_1133
.LBB18_1129:
	s_mov_b32 s3, s2
	v_pk_mov_b32 v[4:5], s[2:3], s[2:3] op_sel:[0,1]
                                        ; implicit-def: $vgpr10
	s_waitcnt vmcnt(0)
	v_mov_b32_e32 v1, v0
	s_and_b32 s8, s38, 3
	s_cmp_eq_u32 s8, 0
	s_cbranch_scc1 .LBB18_1127
.LBB18_1130:
	s_lshl_b32 s3, s2, 3
	s_add_u32 s3, s3, s34
	s_addc_u32 s7, 0, s35
	s_add_u32 s6, s3, 0xc4
	s_addc_u32 s7, s7, 0
	s_mul_i32 s2, s2, 12
	s_add_u32 s2, s34, s2
	s_addc_u32 s3, 0, s35
.LBB18_1131:                            ; =>This Inner Loop Header: Depth=1
	s_load_dwordx2 s[10:11], s[2:3], 0x4
	s_load_dword s9, s[2:3], 0xc
	s_load_dwordx2 s[12:13], s[6:7], 0x0
	s_add_u32 s2, s2, 12
	v_mov_b32_e32 v2, v5
	s_waitcnt lgkmcnt(0)
	v_mul_hi_u32 v3, s11, v1
	v_add_u32_e32 v3, v1, v3
	v_lshrrev_b32_e32 v3, s9, v3
	s_addc_u32 s3, s3, 0
	v_mul_lo_u32 v5, v3, s10
	s_add_u32 s6, s6, 8
	v_sub_u32_e32 v5, v1, v5
	s_addc_u32 s7, s7, 0
	s_add_i32 s8, s8, -1
	v_mov_b32_e32 v1, v3
	v_mad_u64_u32 v[2:3], s[10:11], v5, s13, v[2:3]
	v_mad_u64_u32 v[4:5], s[10:11], v5, s12, v[4:5]
	s_cmp_lg_u32 s8, 0
	v_mov_b32_e32 v5, v2
	s_cbranch_scc1 .LBB18_1131
; %bb.1132:
	v_mov_b32_e32 v10, v5
	s_cbranch_execnz .LBB18_1135
.LBB18_1133:
	s_load_dwordx4 s[8:11], s[34:35], 0x4
	s_load_dwordx2 s[2:3], s[34:35], 0xc4
	s_cmp_lt_u32 s33, 2
	s_waitcnt vmcnt(0) lgkmcnt(0)
	v_mul_hi_u32 v1, s9, v0
	v_add_u32_e32 v1, v0, v1
	v_lshrrev_b32_e32 v1, s10, v1
	v_mul_lo_u32 v2, v1, s8
	v_sub_u32_e32 v0, v0, v2
	v_mul_lo_u32 v10, v0, s3
	v_mul_lo_u32 v4, v0, s2
	s_cbranch_scc1 .LBB18_1135
; %bb.1134:
	s_load_dwordx4 s[8:11], s[34:35], 0x10
	s_load_dwordx2 s[2:3], s[34:35], 0xcc
	s_waitcnt lgkmcnt(0)
	v_mul_hi_u32 v0, s9, v1
	v_add_u32_e32 v0, v1, v0
	v_lshrrev_b32_e32 v0, s10, v0
	v_mul_lo_u32 v0, v0, s8
	v_sub_u32_e32 v0, v1, v0
	v_mad_u64_u32 v[4:5], s[6:7], v0, s2, v[4:5]
	v_mad_u64_u32 v[10:11], s[2:3], v0, s3, v[10:11]
.LBB18_1135:
	s_and_b64 vcc, exec, s[0:1]
	v_add_u32_e32 v0, 0x100, v12
	s_cbranch_vccnz .LBB18_1142
; %bb.1136:
	s_mov_b32 s2, 0
	s_cmp_lg_u32 s33, 0
	v_mov_b32_e32 v12, 0
	v_mov_b32_e32 v2, 0
	s_cbranch_scc0 .LBB18_1141
; %bb.1137:
	s_min_u32 s38, s74, 15
	s_add_i32 s38, s38, 1
	s_cmp_eq_u32 s74, 2
	s_cbranch_scc1 .LBB18_1143
; %bb.1138:
	s_add_u32 s6, s34, 0xc4
	s_addc_u32 s7, s35, 0
	s_and_b32 s2, s38, 28
	s_mov_b32 s3, 0
	v_mov_b32_e32 v2, 0
	s_mov_b64 s[36:37], s[34:35]
	s_waitcnt vmcnt(0)
	v_mov_b32_e32 v1, v0
	v_mov_b32_e32 v12, 0
.LBB18_1139:                            ; =>This Inner Loop Header: Depth=1
	s_load_dwordx8 s[16:23], s[36:37], 0x4
	s_load_dwordx4 s[24:27], s[36:37], 0x24
	s_load_dwordx8 s[8:15], s[6:7], 0x0
	s_add_u32 s36, s36, 48
	s_addc_u32 s37, s37, 0
	s_waitcnt lgkmcnt(0)
	v_mul_hi_u32 v3, s17, v1
	v_add_u32_e32 v3, v1, v3
	v_lshrrev_b32_e32 v3, s18, v3
	v_mul_lo_u32 v5, v3, s16
	v_mul_hi_u32 v7, s20, v3
	v_sub_u32_e32 v1, v1, v5
	v_add_u32_e32 v5, v3, v7
	v_lshrrev_b32_e32 v5, s21, v5
	v_mul_lo_u32 v9, v5, s19
	v_mul_hi_u32 v11, s23, v5
	v_sub_u32_e32 v3, v3, v9
	v_add_u32_e32 v9, v5, v11
	v_mul_lo_u32 v7, v1, s9
	v_mul_lo_u32 v1, v1, s8
	;; [unrolled: 1-line block ×4, first 2 shown]
	v_lshrrev_b32_e32 v9, s24, v9
	v_add3_u32 v2, v1, v2, v3
	v_add3_u32 v3, v7, v12, v11
	v_mul_lo_u32 v1, v9, s22
	v_mul_hi_u32 v7, s26, v9
	v_sub_u32_e32 v1, v5, v1
	v_add_u32_e32 v5, v9, v7
	v_mul_lo_u32 v7, v1, s12
	v_mul_lo_u32 v11, v1, s13
	v_lshrrev_b32_e32 v1, s27, v5
	s_add_i32 s3, s3, 4
	v_mul_lo_u32 v5, v1, s25
	s_add_u32 s6, s6, 32
	v_sub_u32_e32 v5, v9, v5
	s_addc_u32 s7, s7, 0
	v_mul_lo_u32 v9, v5, s14
	v_mul_lo_u32 v5, v5, s15
	s_cmp_lg_u32 s2, s3
	v_add3_u32 v12, v11, v3, v5
	v_add3_u32 v2, v7, v2, v9
	s_cbranch_scc1 .LBB18_1139
; %bb.1140:
	v_mov_b32_e32 v3, v12
	s_and_b32 s8, s38, 3
	s_cmp_eq_u32 s8, 0
	s_cbranch_scc0 .LBB18_1144
.LBB18_1141:
	s_cbranch_execz .LBB18_1147
	s_branch .LBB18_1149
.LBB18_1142:
                                        ; implicit-def: $vgpr12
                                        ; implicit-def: $vgpr2
	s_branch .LBB18_1147
.LBB18_1143:
	s_mov_b32 s3, s2
	v_pk_mov_b32 v[2:3], s[2:3], s[2:3] op_sel:[0,1]
                                        ; implicit-def: $vgpr12
	s_waitcnt vmcnt(0)
	v_mov_b32_e32 v1, v0
	s_and_b32 s8, s38, 3
	s_cmp_eq_u32 s8, 0
	s_cbranch_scc1 .LBB18_1141
.LBB18_1144:
	s_lshl_b32 s3, s2, 3
	s_add_u32 s3, s3, s34
	s_addc_u32 s7, 0, s35
	s_add_u32 s6, s3, 0xc4
	s_addc_u32 s7, s7, 0
	s_mul_i32 s2, s2, 12
	s_add_u32 s2, s34, s2
	s_addc_u32 s3, 0, s35
.LBB18_1145:                            ; =>This Inner Loop Header: Depth=1
	s_load_dwordx2 s[10:11], s[2:3], 0x4
	s_load_dword s9, s[2:3], 0xc
	s_load_dwordx2 s[12:13], s[6:7], 0x0
	v_mov_b32_e32 v12, v3
	s_add_u32 s2, s2, 12
	s_waitcnt lgkmcnt(0)
	v_mul_hi_u32 v3, s11, v1
	v_add_u32_e32 v3, v1, v3
	v_lshrrev_b32_e32 v3, s9, v3
	s_addc_u32 s3, s3, 0
	v_mul_lo_u32 v5, v3, s10
	s_add_u32 s6, s6, 8
	v_sub_u32_e32 v5, v1, v5
	s_addc_u32 s7, s7, 0
	s_add_i32 s8, s8, -1
	v_mov_b32_e32 v1, v3
	v_mad_u64_u32 v[12:13], s[10:11], v5, s13, v[12:13]
	v_mad_u64_u32 v[2:3], s[10:11], v5, s12, v[2:3]
	s_cmp_lg_u32 s8, 0
	v_mov_b32_e32 v3, v12
	s_cbranch_scc1 .LBB18_1145
; %bb.1146:
	v_mov_b32_e32 v12, v3
	s_cbranch_execnz .LBB18_1149
.LBB18_1147:
	s_load_dwordx4 s[8:11], s[34:35], 0x4
	s_load_dwordx2 s[2:3], s[34:35], 0xc4
	s_cmp_lt_u32 s33, 2
	s_waitcnt vmcnt(0) lgkmcnt(0)
	v_mul_hi_u32 v1, s9, v0
	v_add_u32_e32 v1, v0, v1
	v_lshrrev_b32_e32 v1, s10, v1
	v_mul_lo_u32 v2, v1, s8
	v_sub_u32_e32 v0, v0, v2
	v_mul_lo_u32 v12, v0, s3
	v_mul_lo_u32 v2, v0, s2
	s_cbranch_scc1 .LBB18_1149
; %bb.1148:
	s_load_dwordx4 s[8:11], s[34:35], 0x10
	s_load_dwordx2 s[2:3], s[34:35], 0xcc
	s_waitcnt lgkmcnt(0)
	v_mul_hi_u32 v0, s9, v1
	v_add_u32_e32 v0, v1, v0
	v_lshrrev_b32_e32 v0, s10, v0
	v_mul_lo_u32 v0, v0, s8
	v_sub_u32_e32 v0, v1, v0
	v_mad_u64_u32 v[2:3], s[6:7], v0, s2, v[2:3]
	v_mad_u64_u32 v[12:13], s[2:3], v0, s3, v[12:13]
.LBB18_1149:
	s_and_b64 vcc, exec, s[0:1]
	s_cbranch_vccnz .LBB18_1156
; %bb.1150:
	s_mov_b32 s6, 0
	s_cmp_lg_u32 s33, 0
	v_mov_b32_e32 v14, 0
	v_mov_b32_e32 v0, 0
	s_cbranch_scc0 .LBB18_1155
; %bb.1151:
	s_min_u32 s36, s74, 15
	s_add_i32 s36, s36, 1
	s_cmp_eq_u32 s74, 2
	s_cbranch_scc1 .LBB18_1157
; %bb.1152:
	s_add_u32 s24, s34, 0xc4
	s_addc_u32 s25, s35, 0
	s_and_b32 s6, s36, 28
	s_mov_b32 s7, 0
	v_mov_b32_e32 v0, 0
	s_mov_b64 s[26:27], s[34:35]
	v_mov_b32_e32 v3, v15
	v_mov_b32_e32 v14, 0
.LBB18_1153:                            ; =>This Inner Loop Header: Depth=1
	s_load_dwordx8 s[16:23], s[26:27], 0x4
	s_load_dwordx4 s[0:3], s[26:27], 0x24
	s_load_dwordx8 s[8:15], s[24:25], 0x0
	s_add_u32 s26, s26, 48
	s_addc_u32 s27, s27, 0
	s_waitcnt vmcnt(0) lgkmcnt(0)
	v_mul_hi_u32 v1, s17, v3
	v_add_u32_e32 v1, v3, v1
	v_lshrrev_b32_e32 v1, s18, v1
	v_mul_lo_u32 v5, v1, s16
	v_mul_hi_u32 v7, s20, v1
	v_sub_u32_e32 v3, v3, v5
	v_add_u32_e32 v5, v1, v7
	v_lshrrev_b32_e32 v5, s21, v5
	v_mul_lo_u32 v9, v5, s19
	v_mul_hi_u32 v11, s23, v5
	v_sub_u32_e32 v1, v1, v9
	v_add_u32_e32 v9, v5, v11
	v_mul_lo_u32 v7, v3, s9
	v_mul_lo_u32 v3, v3, s8
	;; [unrolled: 1-line block ×4, first 2 shown]
	v_lshrrev_b32_e32 v9, s0, v9
	v_add3_u32 v0, v3, v0, v1
	v_add3_u32 v1, v7, v14, v11
	v_mul_lo_u32 v3, v9, s22
	v_mul_hi_u32 v7, s2, v9
	v_sub_u32_e32 v3, v5, v3
	v_add_u32_e32 v5, v9, v7
	v_mul_lo_u32 v7, v3, s12
	v_mul_lo_u32 v11, v3, s13
	v_lshrrev_b32_e32 v3, s3, v5
	s_add_i32 s7, s7, 4
	v_mul_lo_u32 v5, v3, s1
	s_add_u32 s24, s24, 32
	v_sub_u32_e32 v5, v9, v5
	s_addc_u32 s25, s25, 0
	v_mul_lo_u32 v9, v5, s14
	v_mul_lo_u32 v5, v5, s15
	s_cmp_lg_u32 s6, s7
	v_add3_u32 v14, v11, v1, v5
	v_add3_u32 v0, v7, v0, v9
	s_cbranch_scc1 .LBB18_1153
; %bb.1154:
	v_mov_b32_e32 v1, v14
	s_and_b32 s7, s36, 3
	s_cmp_eq_u32 s7, 0
	s_cbranch_scc0 .LBB18_1158
.LBB18_1155:
	s_cbranch_execz .LBB18_1161
	s_branch .LBB18_1163
.LBB18_1156:
                                        ; implicit-def: $vgpr14
                                        ; implicit-def: $vgpr0
	s_branch .LBB18_1161
.LBB18_1157:
	s_mov_b32 s7, s6
	s_waitcnt vmcnt(0)
	v_pk_mov_b32 v[0:1], s[6:7], s[6:7] op_sel:[0,1]
                                        ; implicit-def: $vgpr14
	v_mov_b32_e32 v3, v15
	s_and_b32 s7, s36, 3
	s_cmp_eq_u32 s7, 0
	s_cbranch_scc1 .LBB18_1155
.LBB18_1158:
	s_lshl_b32 s0, s6, 3
	s_add_u32 s0, s0, s34
	s_addc_u32 s1, 0, s35
	s_add_u32 s0, s0, 0xc4
	s_addc_u32 s1, s1, 0
	s_mul_i32 s2, s6, 12
	s_add_u32 s2, s34, s2
	s_addc_u32 s3, 0, s35
.LBB18_1159:                            ; =>This Inner Loop Header: Depth=1
	s_load_dwordx2 s[8:9], s[2:3], 0x4
	s_load_dword s6, s[2:3], 0xc
	s_load_dwordx2 s[10:11], s[0:1], 0x0
	v_mov_b32_e32 v14, v1
	s_add_u32 s2, s2, 12
	s_waitcnt lgkmcnt(0)
	v_mul_hi_u32 v1, s9, v3
	v_add_u32_e32 v1, v3, v1
	v_lshrrev_b32_e32 v1, s6, v1
	s_addc_u32 s3, s3, 0
	v_mul_lo_u32 v5, v1, s8
	s_add_u32 s0, s0, 8
	v_sub_u32_e32 v5, v3, v5
	s_addc_u32 s1, s1, 0
	s_add_i32 s7, s7, -1
	v_mov_b32_e32 v3, v1
	v_mad_u64_u32 v[16:17], s[8:9], v5, s11, v[14:15]
	v_mad_u64_u32 v[0:1], s[8:9], v5, s10, v[0:1]
	s_cmp_lg_u32 s7, 0
	v_mov_b32_e32 v1, v16
	s_cbranch_scc1 .LBB18_1159
; %bb.1160:
	v_mov_b32_e32 v14, v1
	s_cbranch_execnz .LBB18_1163
.LBB18_1161:
	s_load_dwordx4 s[0:3], s[34:35], 0x4
	s_load_dwordx2 s[6:7], s[34:35], 0xc4
	s_cmp_lt_u32 s33, 2
	s_waitcnt lgkmcnt(0)
	v_mul_hi_u32 v0, s1, v15
	v_add_u32_e32 v0, v15, v0
	s_waitcnt vmcnt(0)
	v_lshrrev_b32_e32 v1, s2, v0
	v_mul_lo_u32 v0, v1, s0
	v_sub_u32_e32 v0, v15, v0
	v_mul_lo_u32 v14, v0, s7
	v_mul_lo_u32 v0, v0, s6
	s_cbranch_scc1 .LBB18_1163
; %bb.1162:
	s_load_dwordx4 s[0:3], s[34:35], 0x10
	s_load_dwordx2 s[6:7], s[34:35], 0xcc
	s_waitcnt lgkmcnt(0)
	v_mul_hi_u32 v3, s1, v1
	v_add_u32_e32 v3, v1, v3
	v_lshrrev_b32_e32 v3, s2, v3
	v_mul_lo_u32 v3, v3, s0
	v_sub_u32_e32 v3, v1, v3
	v_mad_u64_u32 v[0:1], s[0:1], v3, s6, v[0:1]
	v_mad_u64_u32 v[14:15], s[0:1], v3, s7, v[14:15]
.LBB18_1163:
	s_load_dword s16, s[4:5], 0x160
	s_load_dwordx4 s[8:11], s[34:35], 0x148
	s_waitcnt lgkmcnt(0)
	s_lshr_b32 s17, s16, 16
	s_waitcnt vmcnt(0)
	v_mov_b32_e32 v1, s11
	v_add_co_u32_e32 v8, vcc, s10, v8
	v_addc_co_u32_e32 v9, vcc, 0, v1, vcc
	v_mov_b32_e32 v1, 11
	v_cmp_lt_i16_sdwa s[0:1], s17, v1 src0_sel:BYTE_0 src1_sel:DWORD
	s_and_b64 vcc, exec, s[0:1]
	s_cbranch_vccnz .LBB18_1170
; %bb.1164:
	v_mov_b32_e32 v1, 25
	v_cmp_gt_i16_sdwa s[0:1], s17, v1 src0_sel:BYTE_0 src1_sel:DWORD
	s_mov_b64 s[4:5], 0
	s_and_b64 vcc, exec, s[0:1]
	s_cbranch_vccz .LBB18_1172
; %bb.1165:
	v_mov_b32_e32 v1, 28
	v_cmp_gt_i16_sdwa s[0:1], s17, v1 src0_sel:BYTE_0 src1_sel:DWORD
	s_and_b64 vcc, exec, s[0:1]
	s_cbranch_vccz .LBB18_1173
; %bb.1166:
	v_mov_b32_e32 v1, 43
	v_cmp_gt_i16_sdwa s[0:1], s17, v1 src0_sel:BYTE_0 src1_sel:DWORD
	;; [unrolled: 5-line block ×3, first 2 shown]
	s_and_b64 vcc, exec, s[0:1]
	s_cbranch_vccz .LBB18_1175
; %bb.1168:
	v_mov_b32_e32 v1, 46
	v_cmp_eq_u16_sdwa s[0:1], s17, v1 src0_sel:BYTE_0 src1_sel:DWORD
	s_mov_b64 s[2:3], 0
	s_and_b64 vcc, exec, s[0:1]
	s_cbranch_vccz .LBB18_1178
; %bb.1169:
	global_load_dword v1, v[8:9], off
	s_mov_b64 s[0:1], 0
	s_mov_b64 s[6:7], -1
	s_waitcnt vmcnt(0)
	v_lshlrev_b32_e32 v1, 16, v1
	s_branch .LBB18_1179
.LBB18_1170:
	s_mov_b64 s[6:7], 0
                                        ; implicit-def: $vgpr1
	s_mov_b64 s[2:3], s[28:29]
	s_cbranch_execnz .LBB18_1242
.LBB18_1171:
	s_andn2_b64 vcc, exec, s[6:7]
	s_cbranch_vccz .LBB18_1287
	s_branch .LBB18_1698
.LBB18_1172:
	s_mov_b64 s[6:7], 0
	s_mov_b64 s[0:1], 0
                                        ; implicit-def: $vgpr1
	s_cbranch_execnz .LBB18_1207
	s_branch .LBB18_1238
.LBB18_1173:
	s_mov_b64 s[2:3], -1
	s_mov_b64 s[6:7], 0
	s_mov_b64 s[0:1], 0
                                        ; implicit-def: $vgpr1
	s_branch .LBB18_1188
.LBB18_1174:
	s_mov_b64 s[6:7], 0
	s_mov_b64 s[0:1], 0
                                        ; implicit-def: $vgpr1
	s_cbranch_execnz .LBB18_1184
	s_branch .LBB18_1187
.LBB18_1175:
	s_mov_b64 s[2:3], -1
	s_mov_b64 s[6:7], 0
	s_mov_b64 s[0:1], 0
                                        ; implicit-def: $vgpr1
	s_branch .LBB18_1179
.LBB18_1176:
	s_or_saveexec_b64 s[14:15], s[14:15]
                                        ; implicit-def: $sgpr16
	s_xor_b64 exec, exec, s[14:15]
	s_cbranch_execz .LBB18_1019
.LBB18_1177:
	s_mov_b32 s16, 0x46000000
	v_add_f32_e64 v0, |v2|, s16
	v_and_b32_e32 v0, 0xff, v0
	v_cmp_ne_u32_e32 vcc, 0, v0
	s_andn2_b64 s[12:13], s[12:13], exec
	s_and_b64 s[18:19], vcc, exec
	s_mov_b32 s16, 0
	s_or_b64 s[12:13], s[12:13], s[18:19]
	s_or_b64 exec, exec, s[14:15]
	v_mov_b32_e32 v3, s16
	s_and_saveexec_b64 s[14:15], s[12:13]
	s_cbranch_execnz .LBB18_1020
	s_branch .LBB18_1021
.LBB18_1178:
	s_mov_b64 s[0:1], -1
                                        ; implicit-def: $vgpr1
	s_mov_b64 s[6:7], 0
.LBB18_1179:
	s_and_b64 vcc, exec, s[2:3]
	s_cbranch_vccz .LBB18_1182
; %bb.1180:
	v_mov_b32_e32 v1, 44
	v_cmp_eq_u16_sdwa s[0:1], s17, v1 src0_sel:BYTE_0 src1_sel:DWORD
	s_and_b64 vcc, exec, s[0:1]
	s_cbranch_vccz .LBB18_1183
; %bb.1181:
	global_load_ubyte v1, v[8:9], off
	s_movk_i32 s2, 0xff
	v_mov_b32_e32 v3, 0x7f800001
	v_mov_b32_e32 v5, 0x400000
	s_mov_b64 s[0:1], 0
	s_mov_b64 s[6:7], -1
	s_waitcnt vmcnt(0)
	v_lshlrev_b32_e32 v7, 23, v1
	v_cmp_ne_u32_e32 vcc, s2, v1
	v_cndmask_b32_e32 v3, v3, v7, vcc
	v_cmp_ne_u32_e32 vcc, 0, v1
	v_cndmask_b32_e32 v1, v5, v3, vcc
.LBB18_1182:
	s_branch .LBB18_1187
.LBB18_1183:
	s_mov_b64 s[0:1], -1
                                        ; implicit-def: $vgpr1
	s_branch .LBB18_1187
.LBB18_1184:
	v_mov_b32_e32 v1, 29
	v_cmp_eq_u16_sdwa s[0:1], s17, v1 src0_sel:BYTE_0 src1_sel:DWORD
	s_and_b64 vcc, exec, s[0:1]
	s_cbranch_vccz .LBB18_1186
; %bb.1185:
	global_load_dwordx2 v[16:17], v[8:9], off
	s_mov_b64 s[0:1], 0
	s_mov_b64 s[6:7], -1
	s_mov_b64 s[2:3], 0
	s_waitcnt vmcnt(0)
	v_ffbh_u32_e32 v1, v17
	v_min_u32_e32 v1, 32, v1
	v_lshlrev_b64 v[16:17], v1, v[16:17]
	v_min_u32_e32 v3, 1, v16
	v_or_b32_e32 v3, v17, v3
	v_cvt_f32_u32_e32 v3, v3
	v_sub_u32_e32 v1, 32, v1
	v_ldexp_f32 v1, v3, v1
	s_branch .LBB18_1188
.LBB18_1186:
	s_mov_b64 s[0:1], -1
                                        ; implicit-def: $vgpr1
.LBB18_1187:
	s_mov_b64 s[2:3], 0
.LBB18_1188:
	s_and_b64 vcc, exec, s[2:3]
	s_cbranch_vccz .LBB18_1206
; %bb.1189:
	v_mov_b32_e32 v1, 27
	v_cmp_lt_i16_sdwa s[2:3], s17, v1 src0_sel:BYTE_0 src1_sel:DWORD
	s_and_b64 vcc, exec, s[2:3]
	s_cbranch_vccnz .LBB18_1192
; %bb.1190:
	v_cmp_gt_i16_sdwa s[2:3], s17, v1 src0_sel:BYTE_0 src1_sel:DWORD
	s_and_b64 vcc, exec, s[2:3]
	s_cbranch_vccz .LBB18_1193
; %bb.1191:
	global_load_dword v1, v[8:9], off
	s_mov_b64 s[2:3], 0
	s_waitcnt vmcnt(0)
	v_cvt_f32_u32_e32 v1, v1
	s_branch .LBB18_1194
.LBB18_1192:
	s_mov_b64 s[2:3], -1
                                        ; implicit-def: $vgpr1
	s_branch .LBB18_1197
.LBB18_1193:
	s_mov_b64 s[2:3], -1
                                        ; implicit-def: $vgpr1
.LBB18_1194:
	s_andn2_b64 vcc, exec, s[2:3]
	s_cbranch_vccnz .LBB18_1196
; %bb.1195:
	global_load_ushort v1, v[8:9], off
	s_waitcnt vmcnt(0)
	v_cvt_f32_u32_e32 v1, v1
.LBB18_1196:
	s_mov_b64 s[2:3], 0
.LBB18_1197:
	s_andn2_b64 vcc, exec, s[2:3]
	s_cbranch_vccnz .LBB18_1205
; %bb.1198:
	global_load_ubyte v3, v[8:9], off
	s_movk_i32 s2, 0x7f
                                        ; implicit-def: $sgpr14
	s_waitcnt vmcnt(0)
	v_cmp_lt_i16_e32 vcc, s2, v3
	s_mov_b64 s[2:3], 0
	s_and_saveexec_b64 s[6:7], vcc
	s_xor_b64 s[6:7], exec, s[6:7]
	s_cbranch_execz .LBB18_1218
; %bb.1199:
	s_movk_i32 s2, 0x80
	v_cmp_eq_u16_e32 vcc, s2, v3
	s_mov_b64 s[2:3], -1
                                        ; implicit-def: $sgpr14
	s_and_saveexec_b64 s[12:13], vcc
; %bb.1200:
	s_mov_b32 s14, 0x7f800001
	s_xor_b64 s[2:3], exec, -1
; %bb.1201:
	s_or_b64 exec, exec, s[12:13]
	s_and_b64 s[2:3], s[2:3], exec
	s_or_saveexec_b64 s[6:7], s[6:7]
	v_mov_b32_e32 v1, s14
	s_xor_b64 exec, exec, s[6:7]
	s_cbranch_execnz .LBB18_1219
.LBB18_1202:
	s_or_b64 exec, exec, s[6:7]
	s_and_saveexec_b64 s[6:7], s[2:3]
	s_cbranch_execz .LBB18_1204
.LBB18_1203:
	v_lshlrev_b32_e32 v1, 24, v3
	v_and_b32_e32 v3, 0xffff, v3
	v_and_b32_e32 v5, 7, v3
	v_ffbh_u32_e32 v11, v5
	v_min_u32_e32 v11, 32, v11
	v_subrev_u32_e32 v13, 28, v11
	v_bfe_u32 v7, v3, 3, 4
	v_lshlrev_b32_e32 v3, v13, v3
	v_sub_u32_e32 v11, 29, v11
	v_and_b32_e32 v3, 7, v3
	v_cmp_eq_u32_e32 vcc, 0, v7
	v_cndmask_b32_e32 v7, v7, v11, vcc
	v_cndmask_b32_e32 v3, v5, v3, vcc
	v_mov_b32_e32 v5, 0x3b800000
	v_lshlrev_b32_e32 v3, 20, v3
	v_and_b32_e32 v1, 0x80000000, v1
	v_lshl_add_u32 v5, v7, 23, v5
	v_or3_b32 v1, v1, v5, v3
.LBB18_1204:
	s_or_b64 exec, exec, s[6:7]
.LBB18_1205:
	s_mov_b64 s[6:7], -1
.LBB18_1206:
	s_branch .LBB18_1238
.LBB18_1207:
	v_mov_b32_e32 v1, 22
	v_cmp_gt_i16_sdwa s[2:3], s17, v1 src0_sel:BYTE_0 src1_sel:DWORD
	s_and_b64 vcc, exec, s[2:3]
	s_cbranch_vccz .LBB18_1217
; %bb.1208:
	v_mov_b32_e32 v1, 24
	v_cmp_lt_i16_sdwa s[2:3], s17, v1 src0_sel:BYTE_0 src1_sel:DWORD
	s_and_b64 vcc, exec, s[2:3]
	s_cbranch_vccnz .LBB18_1220
; %bb.1209:
	v_cmp_gt_i16_sdwa s[2:3], s17, v1 src0_sel:BYTE_0 src1_sel:DWORD
	s_and_b64 vcc, exec, s[2:3]
	s_cbranch_vccz .LBB18_1221
; %bb.1210:
	global_load_ubyte v3, v[8:9], off
	s_movk_i32 s2, 0x7f
                                        ; implicit-def: $sgpr12
	s_waitcnt vmcnt(0)
	v_cmp_lt_i16_e32 vcc, s2, v3
	s_mov_b64 s[2:3], 0
	s_and_saveexec_b64 s[4:5], vcc
	s_xor_b64 s[4:5], exec, s[4:5]
	s_cbranch_execz .LBB18_1232
; %bb.1211:
	s_movk_i32 s2, 0x80
	v_cmp_eq_u16_e32 vcc, s2, v3
	s_mov_b64 s[2:3], -1
                                        ; implicit-def: $sgpr12
	s_and_saveexec_b64 s[6:7], vcc
; %bb.1212:
	s_mov_b32 s12, 0x7f800001
	s_xor_b64 s[2:3], exec, -1
; %bb.1213:
	s_or_b64 exec, exec, s[6:7]
	s_and_b64 s[2:3], s[2:3], exec
	s_or_saveexec_b64 s[4:5], s[4:5]
	v_mov_b32_e32 v1, s12
	s_xor_b64 exec, exec, s[4:5]
	s_cbranch_execnz .LBB18_1233
.LBB18_1214:
	s_or_b64 exec, exec, s[4:5]
	s_and_saveexec_b64 s[4:5], s[2:3]
	s_cbranch_execz .LBB18_1216
.LBB18_1215:
	v_lshlrev_b32_e32 v1, 24, v3
	v_and_b32_e32 v3, 0xffff, v3
	v_and_b32_e32 v5, 3, v3
	v_ffbh_u32_e32 v11, v5
	v_min_u32_e32 v11, 32, v11
	v_subrev_u32_e32 v13, 29, v11
	v_bfe_u32 v7, v3, 2, 5
	v_lshlrev_b32_e32 v3, v13, v3
	v_sub_u32_e32 v11, 30, v11
	v_and_b32_e32 v3, 3, v3
	v_cmp_eq_u32_e32 vcc, 0, v7
	v_cndmask_b32_e32 v7, v7, v11, vcc
	v_cndmask_b32_e32 v3, v5, v3, vcc
	v_mov_b32_e32 v5, 0x37800000
	v_lshlrev_b32_e32 v3, 21, v3
	v_and_b32_e32 v1, 0x80000000, v1
	v_lshl_add_u32 v5, v7, 23, v5
	v_or3_b32 v1, v1, v5, v3
.LBB18_1216:
	s_or_b64 exec, exec, s[4:5]
	s_mov_b64 s[2:3], 0
	s_branch .LBB18_1222
.LBB18_1217:
                                        ; implicit-def: $vgpr1
	s_mov_b64 s[4:5], 0
	s_branch .LBB18_1228
.LBB18_1218:
	s_or_saveexec_b64 s[6:7], s[6:7]
	v_mov_b32_e32 v1, s14
	s_xor_b64 exec, exec, s[6:7]
	s_cbranch_execz .LBB18_1202
.LBB18_1219:
	v_cmp_ne_u16_e32 vcc, 0, v3
	s_andn2_b64 s[2:3], s[2:3], exec
	s_and_b64 s[12:13], vcc, exec
	v_mov_b32_e32 v1, 0
	s_or_b64 s[2:3], s[2:3], s[12:13]
	s_or_b64 exec, exec, s[6:7]
	s_and_saveexec_b64 s[6:7], s[2:3]
	s_cbranch_execnz .LBB18_1203
	s_branch .LBB18_1204
.LBB18_1220:
	s_mov_b64 s[2:3], -1
                                        ; implicit-def: $vgpr1
	s_branch .LBB18_1225
.LBB18_1221:
	s_mov_b64 s[2:3], -1
                                        ; implicit-def: $vgpr1
.LBB18_1222:
	s_and_b64 vcc, exec, s[2:3]
	s_cbranch_vccz .LBB18_1224
; %bb.1223:
	global_load_ubyte v1, v[8:9], off
	s_mov_b32 s2, 0x7f800000
	s_waitcnt vmcnt(0)
	v_lshlrev_b32_e32 v1, 24, v1
	v_and_b32_e32 v3, 0x7f000000, v1
	v_ffbh_u32_e32 v5, v3
	v_min_u32_e32 v5, 32, v5
	v_sub_u32_e64 v5, v5, 4 clamp
	v_lshlrev_b32_e32 v11, v5, v3
	v_lshlrev_b32_e32 v5, 23, v5
	v_lshrrev_b32_e32 v11, 4, v11
	v_add_u32_e32 v7, 0x1000000, v3
	v_sub_u32_e32 v5, v11, v5
	v_ashrrev_i32_e32 v7, 8, v7
	v_add_u32_e32 v5, 0x3c000000, v5
	v_and_or_b32 v5, v7, s2, v5
	v_cmp_ne_u32_e32 vcc, 0, v3
	v_cndmask_b32_e32 v3, 0, v5, vcc
	s_brev_b32 s2, 1
	v_and_or_b32 v1, v1, s2, v3
.LBB18_1224:
	s_mov_b64 s[2:3], 0
.LBB18_1225:
	s_andn2_b64 vcc, exec, s[2:3]
	s_cbranch_vccnz .LBB18_1227
; %bb.1226:
	global_load_ubyte v1, v[8:9], off
	s_movk_i32 s2, 0x7f00
	s_brev_b32 s3, 16
	s_waitcnt vmcnt(0)
	v_lshlrev_b16_e32 v3, 8, v1
	v_lshlrev_b32_e32 v1, 25, v1
	v_lshrrev_b32_e32 v5, 4, v1
	v_and_or_b32 v7, v3, s2, 0.5
	v_or_b32_e32 v5, 0x70000000, v5
	v_add_f32_e32 v7, -0.5, v7
	v_mul_f32_e32 v5, 0x7800000, v5
	v_cmp_gt_u32_e32 vcc, s3, v1
	v_bfe_i32 v3, v3, 0, 16
	v_cndmask_b32_e32 v1, v5, v7, vcc
	s_brev_b32 s2, 1
	v_and_or_b32 v1, v3, s2, v1
.LBB18_1227:
	s_mov_b64 s[6:7], -1
	s_mov_b64 s[4:5], 0
	s_cbranch_execnz .LBB18_1238
.LBB18_1228:
	v_mov_b32_e32 v1, 14
	v_cmp_gt_i16_sdwa s[2:3], s17, v1 src0_sel:BYTE_0 src1_sel:DWORD
	s_and_b64 vcc, exec, s[2:3]
	s_cbranch_vccz .LBB18_1231
; %bb.1229:
	v_mov_b32_e32 v1, 15
	v_cmp_eq_u16_sdwa s[0:1], s17, v1 src0_sel:BYTE_0 src1_sel:DWORD
	s_and_b64 vcc, exec, s[0:1]
	s_cbranch_vccz .LBB18_1234
; %bb.1230:
	global_load_ushort v1, v[8:9], off
	s_mov_b64 s[0:1], 0
	s_mov_b64 s[6:7], -1
	s_waitcnt vmcnt(0)
	v_lshlrev_b32_e32 v1, 16, v1
	s_branch .LBB18_1235
.LBB18_1231:
	s_mov_b64 s[2:3], -1
                                        ; implicit-def: $vgpr1
	s_branch .LBB18_1236
.LBB18_1232:
	s_or_saveexec_b64 s[4:5], s[4:5]
	v_mov_b32_e32 v1, s12
	s_xor_b64 exec, exec, s[4:5]
	s_cbranch_execz .LBB18_1214
.LBB18_1233:
	v_cmp_ne_u16_e32 vcc, 0, v3
	s_andn2_b64 s[2:3], s[2:3], exec
	s_and_b64 s[6:7], vcc, exec
	v_mov_b32_e32 v1, 0
	s_or_b64 s[2:3], s[2:3], s[6:7]
	s_or_b64 exec, exec, s[4:5]
	s_and_saveexec_b64 s[4:5], s[2:3]
	s_cbranch_execnz .LBB18_1215
	s_branch .LBB18_1216
.LBB18_1234:
	s_mov_b64 s[0:1], -1
                                        ; implicit-def: $vgpr1
.LBB18_1235:
	s_mov_b64 s[2:3], 0
.LBB18_1236:
	s_and_b64 vcc, exec, s[2:3]
	s_cbranch_vccz .LBB18_1238
; %bb.1237:
	v_mov_b32_e32 v1, 11
	v_cmp_ne_u16_sdwa s[0:1], s17, v1 src0_sel:BYTE_0 src1_sel:DWORD
	s_mov_b64 s[4:5], -1
                                        ; implicit-def: $vgpr1
.LBB18_1238:
	s_and_b64 vcc, exec, s[0:1]
	s_mov_b64 s[2:3], s[28:29]
	s_cbranch_vccnz .LBB18_1303
; %bb.1239:
	s_andn2_b64 vcc, exec, s[4:5]
	s_cbranch_vccnz .LBB18_1241
.LBB18_1240:
	global_load_ubyte v1, v[8:9], off
	s_mov_b64 s[6:7], -1
	s_waitcnt vmcnt(0)
	v_cmp_ne_u16_e32 vcc, 0, v1
	v_cndmask_b32_e64 v1, 0, 1.0, vcc
.LBB18_1241:
	s_branch .LBB18_1171
.LBB18_1242:
	v_mov_b32_e32 v1, 5
	v_cmp_lt_i16_sdwa s[0:1], s17, v1 src0_sel:BYTE_0 src1_sel:DWORD
	s_and_b64 vcc, exec, s[0:1]
	s_cbranch_vccnz .LBB18_1247
; %bb.1243:
	v_mov_b32_e32 v1, 8
	v_cmp_lt_i16_sdwa s[0:1], s17, v1 src0_sel:BYTE_0 src1_sel:DWORD
	s_and_b64 vcc, exec, s[0:1]
	s_cbranch_vccnz .LBB18_1248
; %bb.1244:
	;; [unrolled: 5-line block ×3, first 2 shown]
	v_cmp_gt_i16_sdwa s[0:1], s17, v1 src0_sel:BYTE_0 src1_sel:DWORD
	s_and_b64 vcc, exec, s[0:1]
	s_cbranch_vccz .LBB18_1250
; %bb.1246:
	global_load_dwordx2 v[16:17], v[8:9], off
	s_mov_b64 s[0:1], 0
	s_waitcnt vmcnt(0)
	v_cvt_f32_f64_e32 v1, v[16:17]
	s_branch .LBB18_1251
.LBB18_1247:
                                        ; implicit-def: $vgpr1
	s_branch .LBB18_1268
.LBB18_1248:
                                        ; implicit-def: $vgpr1
	s_branch .LBB18_1257
.LBB18_1249:
	s_mov_b64 s[0:1], -1
                                        ; implicit-def: $vgpr1
	s_branch .LBB18_1254
.LBB18_1250:
	s_mov_b64 s[0:1], -1
                                        ; implicit-def: $vgpr1
.LBB18_1251:
	s_andn2_b64 vcc, exec, s[0:1]
	s_cbranch_vccnz .LBB18_1253
; %bb.1252:
	global_load_dword v1, v[8:9], off
.LBB18_1253:
	s_mov_b64 s[0:1], 0
.LBB18_1254:
	s_andn2_b64 vcc, exec, s[0:1]
	s_cbranch_vccnz .LBB18_1256
; %bb.1255:
	global_load_dword v1, v[8:9], off
	s_waitcnt vmcnt(0)
	v_cvt_f32_f16_e32 v1, v1
.LBB18_1256:
	s_cbranch_execnz .LBB18_1267
.LBB18_1257:
	s_waitcnt vmcnt(0)
	v_mov_b32_e32 v1, 6
	v_cmp_lt_i16_sdwa s[0:1], s17, v1 src0_sel:BYTE_0 src1_sel:DWORD
	s_and_b64 vcc, exec, s[0:1]
	s_cbranch_vccnz .LBB18_1260
; %bb.1258:
	v_cmp_gt_i16_sdwa s[0:1], s17, v1 src0_sel:BYTE_0 src1_sel:DWORD
	s_and_b64 vcc, exec, s[0:1]
	s_cbranch_vccz .LBB18_1261
; %bb.1259:
	global_load_dwordx2 v[16:17], v[8:9], off
	s_mov_b64 s[0:1], 0
	s_waitcnt vmcnt(0)
	v_cvt_f32_f64_e32 v1, v[16:17]
	s_branch .LBB18_1262
.LBB18_1260:
	s_mov_b64 s[0:1], -1
                                        ; implicit-def: $vgpr1
	s_branch .LBB18_1265
.LBB18_1261:
	s_mov_b64 s[0:1], -1
                                        ; implicit-def: $vgpr1
.LBB18_1262:
	s_andn2_b64 vcc, exec, s[0:1]
	s_cbranch_vccnz .LBB18_1264
; %bb.1263:
	global_load_dword v1, v[8:9], off
.LBB18_1264:
	s_mov_b64 s[0:1], 0
.LBB18_1265:
	s_andn2_b64 vcc, exec, s[0:1]
	s_cbranch_vccnz .LBB18_1267
; %bb.1266:
	global_load_ushort v1, v[8:9], off
	s_waitcnt vmcnt(0)
	v_cvt_f32_f16_e32 v1, v1
.LBB18_1267:
	s_cbranch_execnz .LBB18_1286
.LBB18_1268:
	s_waitcnt vmcnt(0)
	v_mov_b32_e32 v1, 2
	v_cmp_lt_i16_sdwa s[0:1], s17, v1 src0_sel:BYTE_0 src1_sel:DWORD
	s_and_b64 vcc, exec, s[0:1]
	s_cbranch_vccnz .LBB18_1272
; %bb.1269:
	v_mov_b32_e32 v1, 3
	v_cmp_lt_i16_sdwa s[0:1], s17, v1 src0_sel:BYTE_0 src1_sel:DWORD
	s_and_b64 vcc, exec, s[0:1]
	s_cbranch_vccnz .LBB18_1273
; %bb.1270:
	v_cmp_gt_i16_sdwa s[0:1], s17, v1 src0_sel:BYTE_0 src1_sel:DWORD
	s_and_b64 vcc, exec, s[0:1]
	s_cbranch_vccz .LBB18_1274
; %bb.1271:
	global_load_dwordx2 v[16:17], v[8:9], off
	s_mov_b64 s[0:1], 0
	s_waitcnt vmcnt(0)
	v_xor_b32_e32 v3, v16, v17
	v_ffbh_i32_e32 v1, v17
	v_ashrrev_i32_e32 v3, 31, v3
	v_add_u32_e32 v1, -1, v1
	v_add_u32_e32 v3, 32, v3
	v_min_u32_e32 v1, v1, v3
	v_lshlrev_b64 v[16:17], v1, v[16:17]
	v_min_u32_e32 v3, 1, v16
	v_or_b32_e32 v3, v17, v3
	v_cvt_f32_i32_e32 v3, v3
	v_sub_u32_e32 v1, 32, v1
	v_ldexp_f32 v1, v3, v1
	s_branch .LBB18_1275
.LBB18_1272:
                                        ; implicit-def: $vgpr1
	s_branch .LBB18_1281
.LBB18_1273:
	s_mov_b64 s[0:1], -1
                                        ; implicit-def: $vgpr1
	s_branch .LBB18_1278
.LBB18_1274:
	s_mov_b64 s[0:1], -1
                                        ; implicit-def: $vgpr1
.LBB18_1275:
	s_andn2_b64 vcc, exec, s[0:1]
	s_cbranch_vccnz .LBB18_1277
; %bb.1276:
	global_load_dword v1, v[8:9], off
	s_waitcnt vmcnt(0)
	v_cvt_f32_i32_e32 v1, v1
.LBB18_1277:
	s_mov_b64 s[0:1], 0
.LBB18_1278:
	s_andn2_b64 vcc, exec, s[0:1]
	s_cbranch_vccnz .LBB18_1280
; %bb.1279:
	global_load_sshort v1, v[8:9], off
	s_waitcnt vmcnt(0)
	v_cvt_f32_i32_e32 v1, v1
.LBB18_1280:
	s_cbranch_execnz .LBB18_1286
.LBB18_1281:
	v_mov_b32_e32 v1, 0
	v_cmp_gt_i16_sdwa s[0:1], s17, v1 src0_sel:BYTE_0 src1_sel:DWORD
	s_and_b64 vcc, exec, s[0:1]
	s_cbranch_vccz .LBB18_1283
; %bb.1282:
	global_load_sbyte v1, v[8:9], off
	s_mov_b64 s[0:1], 0
	s_waitcnt vmcnt(0)
	v_cvt_f32_i32_e32 v1, v1
	s_branch .LBB18_1284
.LBB18_1283:
	s_mov_b64 s[0:1], -1
                                        ; implicit-def: $vgpr1
.LBB18_1284:
	s_andn2_b64 vcc, exec, s[0:1]
	s_cbranch_vccnz .LBB18_1286
; %bb.1285:
	global_load_ubyte v1, v[8:9], off
	s_waitcnt vmcnt(0)
	v_cvt_f32_ubyte0_e32 v1, v1
.LBB18_1286:
.LBB18_1287:
	s_mov_b32 s0, 0x41000000
	s_waitcnt vmcnt(0)
	v_cmp_le_f32_e64 s[0:1], |v1|, s0
                                        ; implicit-def: $vgpr8
	s_and_saveexec_b64 s[4:5], s[0:1]
	s_xor_b64 s[0:1], exec, s[4:5]
	s_cbranch_execz .LBB18_1289
; %bb.1288:
	v_fma_f32 v3, |v1|, 0.5, -2.0
	v_mov_b32_e32 v5, 0x24199b15
	v_fmac_f32_e32 v5, 0xa2a2e5b9, v3
	v_mov_b32_e32 v7, 0x22a2e5b9
	v_fmac_f32_e32 v7, v3, v5
	v_add_f32_e32 v7, 0xa58c275c, v7
	v_fma_f32 v5, v3, v7, -v5
	v_add_f32_e32 v5, 0x26f736c5, v5
	v_fma_f32 v7, v3, v5, -v7
	;; [unrolled: 2-line block ×22, first 2 shown]
	v_add_f32_e32 v7, 0xbcc274f8, v7
	s_mov_b32 s4, 0x3fb8aa3b
	v_fma_f32 v5, v3, v7, -v5
	v_mul_f32_e64 v8, |v1|, s4
	v_add_f32_e32 v5, 0x3d49f456, v5
	v_rndne_f32_e32 v9, v8
	v_fma_f32 v7, v3, v5, -v7
	v_sub_f32_e32 v11, v8, v9
	v_fma_f32 v8, |v1|, s4, -v8
	s_mov_b32 s4, 0x32a5705f
	v_add_f32_e32 v7, 0xbdc25b82, v7
	v_fma_f32 v8, |v1|, s4, v8
	v_fma_f32 v5, v3, v7, -v5
	v_add_f32_e32 v8, v11, v8
	v_add_f32_e32 v5, 0x3e2fbd64, v5
	v_exp_f32_e32 v8, v8
	v_cvt_i32_f32_e32 v9, v9
	v_fma_f32 v7, v3, v5, -v7
	v_add_f32_e32 v7, 0xbe9bff5e, v7
	v_fma_f32 v3, v3, v7, -v5
	s_mov_b32 s4, 0xc2ce8ed0
	v_add_f32_e32 v3, 0x3f2d4275, v3
	v_ldexp_f32 v7, v8, v9
	v_cmp_nlt_f32_e64 vcc, |v1|, s4
	s_mov_b32 s4, 0x42b17218
	v_cndmask_b32_e32 v7, 0, v7, vcc
	v_mov_b32_e32 v8, 0x7f800000
	v_cmp_ngt_f32_e64 vcc, |v1|, s4
	v_sub_f32_e32 v3, v3, v5
	v_cndmask_b32_e32 v1, v8, v7, vcc
	v_mul_f32_e32 v3, 0.5, v3
	v_mul_f32_e32 v8, v1, v3
                                        ; implicit-def: $vgpr1
.LBB18_1289:
	s_andn2_saveexec_b64 s[4:5], s[0:1]
	s_cbranch_execz .LBB18_1291
; %bb.1290:
	v_and_b32_e32 v3, 0x7fffffff, v1
	s_mov_b32 s6, 0x42000000
	v_div_scale_f32 v5, s[0:1], v3, v3, s6
	v_rcp_f32_e32 v7, v5
	v_div_scale_f32 v3, vcc, s6, v3, s6
	s_mov_b32 s0, 0x3fb8aa3b
	v_fma_f32 v8, -v5, v7, 1.0
	v_fmac_f32_e32 v7, v8, v7
	v_mul_f32_e32 v8, v3, v7
	v_fma_f32 v9, -v5, v8, v3
	v_fmac_f32_e32 v8, v9, v7
	v_fma_f32 v3, -v5, v8, v3
	v_div_fmas_f32 v3, v3, v7, v8
	v_div_fixup_f32 v3, v3, |v1|, s6
	v_add_f32_e32 v3, -2.0, v3
	v_mov_b32_e32 v5, 0xa2b236d3
	v_fmac_f32_e32 v5, 0xa3056dbb, v3
	v_mov_b32_e32 v7, 0x23056dbb
	v_fmac_f32_e32 v7, v3, v5
	v_add_f32_e32 v7, 0x244df0c1, v7
	v_fma_f32 v5, v3, v7, -v5
	v_add_f32_e32 v5, 0x241f9ee8, v5
	v_fma_f32 v7, v3, v5, -v7
	;; [unrolled: 2-line block ×17, first 2 shown]
	v_add_f32_e32 v5, 0x32c2b494, v5
	v_mul_f32_e64 v8, |v1|, s0
	v_fma_f32 v7, v3, v5, -v7
	v_rndne_f32_e32 v9, v8
	v_add_f32_e32 v7, 0x345c003f, v7
	v_sub_f32_e32 v11, v8, v9
	v_fma_f32 v8, |v1|, s0, -v8
	s_mov_b32 s0, 0x32a5705f
	v_fma_f32 v5, v3, v7, -v5
	v_fma_f32 v8, |v1|, s0, v8
	v_add_f32_e32 v5, 0x3642095e, v5
	v_add_f32_e32 v8, v11, v8
	v_fma_f32 v7, v3, v5, -v7
	v_exp_f32_e32 v8, v8
	v_cvt_i32_f32_e32 v9, v9
	v_add_f32_e32 v7, 0x38907d1c, v7
	v_fma_f32 v5, v3, v7, -v5
	v_add_f32_e32 v5, 0x3b5ccc65, v5
	s_mov_b32 s0, 0xc2ce8ed0
	v_fma_f32 v3, v3, v5, -v7
	v_ldexp_f32 v5, v8, v9
	v_cmp_nlt_f32_e64 vcc, |v1|, s0
	s_mov_b32 s0, 0x42b17218
	v_cndmask_b32_e32 v5, 0, v5, vcc
	v_mov_b32_e32 v8, 0x7f800000
	v_cmp_ngt_f32_e64 vcc, |v1|, s0
	s_mov_b32 s0, 0xf800000
	s_mov_b32 s1, 0x4f800000
	v_cndmask_b32_e32 v5, v8, v5, vcc
	v_mul_f32_e64 v8, |v1|, s1
	v_cmp_lt_f32_e64 vcc, |v1|, s0
	v_cndmask_b32_e64 v1, |v1|, v8, vcc
	v_sqrt_f32_e32 v8, v1
	v_add_f32_e32 v3, 0x3f4df315, v3
	v_sub_f32_e32 v3, v3, v7
	v_mul_f32_e32 v3, 0.5, v3
	v_mul_f32_e32 v3, v5, v3
	v_add_u32_e32 v5, -1, v8
	v_fma_f32 v7, -v5, v8, v1
	v_cmp_ge_f32_e64 s[0:1], 0, v7
	v_add_u32_e32 v7, 1, v8
	v_cndmask_b32_e64 v5, v8, v5, s[0:1]
	v_fma_f32 v8, -v7, v8, v1
	v_cmp_lt_f32_e64 s[0:1], 0, v8
	v_cndmask_b32_e64 v5, v5, v7, s[0:1]
	v_mul_f32_e32 v7, 0x37800000, v5
	v_cndmask_b32_e32 v5, v5, v7, vcc
	v_mov_b32_e32 v7, 0x260
	v_cmp_class_f32_e32 vcc, v1, v7
	v_cndmask_b32_e32 v1, v5, v1, vcc
	v_div_scale_f32 v5, s[0:1], v1, v1, v3
	v_rcp_f32_e32 v7, v5
	v_fma_f32 v8, -v5, v7, 1.0
	v_fmac_f32_e32 v7, v8, v7
	v_div_scale_f32 v8, vcc, v3, v1, v3
	v_mul_f32_e32 v9, v8, v7
	v_fma_f32 v11, -v5, v9, v8
	v_fmac_f32_e32 v9, v11, v7
	v_fma_f32 v5, -v5, v9, v8
	v_div_fmas_f32 v5, v5, v7, v9
	v_div_fixup_f32 v8, v5, v1, v3
.LBB18_1291:
	s_or_b64 exec, exec, s[4:5]
	v_mov_b32_e32 v1, s11
	v_add_co_u32_e32 v10, vcc, s10, v10
	v_addc_co_u32_e32 v11, vcc, 0, v1, vcc
	v_mov_b32_e32 v1, 11
	v_cmp_lt_i16_sdwa s[0:1], s17, v1 src0_sel:BYTE_0 src1_sel:DWORD
	s_and_b64 vcc, exec, s[0:1]
	s_cbranch_vccnz .LBB18_1298
; %bb.1292:
	v_mov_b32_e32 v1, 25
	v_cmp_gt_i16_sdwa s[0:1], s17, v1 src0_sel:BYTE_0 src1_sel:DWORD
	s_mov_b64 s[4:5], 0
	s_and_b64 vcc, exec, s[0:1]
	s_cbranch_vccz .LBB18_1300
; %bb.1293:
	v_mov_b32_e32 v1, 28
	v_cmp_gt_i16_sdwa s[0:1], s17, v1 src0_sel:BYTE_0 src1_sel:DWORD
	s_and_b64 vcc, exec, s[0:1]
	s_cbranch_vccz .LBB18_1301
; %bb.1294:
	v_mov_b32_e32 v1, 43
	v_cmp_gt_i16_sdwa s[0:1], s17, v1 src0_sel:BYTE_0 src1_sel:DWORD
	;; [unrolled: 5-line block ×3, first 2 shown]
	s_and_b64 vcc, exec, s[0:1]
	s_cbranch_vccz .LBB18_1304
; %bb.1296:
	v_mov_b32_e32 v1, 46
	v_cmp_eq_u16_sdwa s[0:1], s17, v1 src0_sel:BYTE_0 src1_sel:DWORD
	s_mov_b64 s[12:13], 0
	s_and_b64 vcc, exec, s[0:1]
	s_cbranch_vccz .LBB18_1307
; %bb.1297:
	global_load_dword v1, v[10:11], off
	s_mov_b64 s[0:1], 0
	s_mov_b64 s[6:7], -1
	s_waitcnt vmcnt(0)
	v_lshlrev_b32_e32 v1, 16, v1
	s_branch .LBB18_1308
.LBB18_1298:
	s_mov_b64 s[6:7], 0
                                        ; implicit-def: $vgpr1
	s_cbranch_execnz .LBB18_1373
.LBB18_1299:
	s_andn2_b64 vcc, exec, s[6:7]
	s_cbranch_vccnz .LBB18_1698
	s_branch .LBB18_1420
.LBB18_1300:
	s_mov_b64 s[6:7], 0
	s_mov_b64 s[0:1], 0
                                        ; implicit-def: $vgpr1
	s_cbranch_execnz .LBB18_1337
	s_branch .LBB18_1369
.LBB18_1301:
	s_mov_b64 s[12:13], -1
	s_mov_b64 s[6:7], 0
	s_mov_b64 s[0:1], 0
                                        ; implicit-def: $vgpr1
	s_branch .LBB18_1318
.LBB18_1302:
	s_mov_b64 s[12:13], -1
	s_mov_b64 s[6:7], 0
	s_mov_b64 s[0:1], 0
                                        ; implicit-def: $vgpr1
	s_branch .LBB18_1313
.LBB18_1303:
	s_or_b64 s[2:3], s[28:29], exec
	s_trap 2
                                        ; implicit-def: $vgpr1
	s_cbranch_execz .LBB18_1240
	s_branch .LBB18_1241
.LBB18_1304:
	s_mov_b64 s[12:13], -1
	s_mov_b64 s[6:7], 0
	s_mov_b64 s[0:1], 0
                                        ; implicit-def: $vgpr1
	s_branch .LBB18_1308
.LBB18_1305:
	s_or_saveexec_b64 s[16:17], s[16:17]
                                        ; implicit-def: $sgpr18
	s_xor_b64 exec, exec, s[16:17]
	s_cbranch_execz .LBB18_1031
.LBB18_1306:
	s_mov_b32 s18, 0x42800000
	v_add_f32_e64 v0, |v2|, s18
	v_and_b32_e32 v0, 0xff, v0
	v_cmp_ne_u32_e32 vcc, 0, v0
	s_andn2_b64 s[14:15], s[14:15], exec
	s_and_b64 s[20:21], vcc, exec
	s_mov_b32 s18, 0
	s_or_b64 s[14:15], s[14:15], s[20:21]
	s_or_b64 exec, exec, s[16:17]
	v_mov_b32_e32 v3, s18
	s_and_saveexec_b64 s[16:17], s[14:15]
	s_cbranch_execnz .LBB18_1032
	s_branch .LBB18_1033
.LBB18_1307:
	s_mov_b64 s[0:1], -1
                                        ; implicit-def: $vgpr1
	s_mov_b64 s[6:7], 0
.LBB18_1308:
	s_and_b64 vcc, exec, s[12:13]
	s_cbranch_vccz .LBB18_1312
; %bb.1309:
	v_mov_b32_e32 v1, 44
	v_cmp_eq_u16_sdwa s[0:1], s17, v1 src0_sel:BYTE_0 src1_sel:DWORD
	s_and_b64 vcc, exec, s[0:1]
	s_cbranch_vccz .LBB18_1311
; %bb.1310:
	global_load_ubyte v1, v[10:11], off
	s_movk_i32 s6, 0xff
	v_mov_b32_e32 v3, 0x7f800001
	v_mov_b32_e32 v5, 0x400000
	s_mov_b64 s[0:1], 0
	s_waitcnt vmcnt(0)
	v_lshlrev_b32_e32 v7, 23, v1
	v_cmp_ne_u32_e32 vcc, s6, v1
	v_cndmask_b32_e32 v3, v3, v7, vcc
	v_cmp_ne_u32_e32 vcc, 0, v1
	v_cndmask_b32_e32 v1, v5, v3, vcc
	s_mov_b64 s[6:7], -1
	s_branch .LBB18_1312
.LBB18_1311:
	s_mov_b64 s[0:1], -1
                                        ; implicit-def: $vgpr1
.LBB18_1312:
	s_mov_b64 s[12:13], 0
.LBB18_1313:
	s_and_b64 vcc, exec, s[12:13]
	s_cbranch_vccz .LBB18_1317
; %bb.1314:
	v_mov_b32_e32 v1, 29
	v_cmp_eq_u16_sdwa s[0:1], s17, v1 src0_sel:BYTE_0 src1_sel:DWORD
	s_and_b64 vcc, exec, s[0:1]
	s_cbranch_vccz .LBB18_1316
; %bb.1315:
	global_load_dwordx2 v[16:17], v[10:11], off
	s_mov_b64 s[0:1], 0
	s_mov_b64 s[6:7], -1
	s_mov_b64 s[12:13], 0
	s_waitcnt vmcnt(0)
	v_ffbh_u32_e32 v1, v17
	v_min_u32_e32 v1, 32, v1
	v_lshlrev_b64 v[16:17], v1, v[16:17]
	v_min_u32_e32 v3, 1, v16
	v_or_b32_e32 v3, v17, v3
	v_cvt_f32_u32_e32 v3, v3
	v_sub_u32_e32 v1, 32, v1
	v_ldexp_f32 v1, v3, v1
	s_branch .LBB18_1318
.LBB18_1316:
	s_mov_b64 s[0:1], -1
                                        ; implicit-def: $vgpr1
.LBB18_1317:
	s_mov_b64 s[12:13], 0
.LBB18_1318:
	s_and_b64 vcc, exec, s[12:13]
	s_cbranch_vccz .LBB18_1336
; %bb.1319:
	v_mov_b32_e32 v1, 27
	v_cmp_lt_i16_sdwa s[6:7], s17, v1 src0_sel:BYTE_0 src1_sel:DWORD
	s_and_b64 vcc, exec, s[6:7]
	s_cbranch_vccnz .LBB18_1322
; %bb.1320:
	v_cmp_gt_i16_sdwa s[6:7], s17, v1 src0_sel:BYTE_0 src1_sel:DWORD
	s_and_b64 vcc, exec, s[6:7]
	s_cbranch_vccz .LBB18_1323
; %bb.1321:
	global_load_dword v1, v[10:11], off
	s_mov_b64 s[6:7], 0
	s_waitcnt vmcnt(0)
	v_cvt_f32_u32_e32 v1, v1
	s_branch .LBB18_1324
.LBB18_1322:
	s_mov_b64 s[6:7], -1
                                        ; implicit-def: $vgpr1
	s_branch .LBB18_1327
.LBB18_1323:
	s_mov_b64 s[6:7], -1
                                        ; implicit-def: $vgpr1
.LBB18_1324:
	s_andn2_b64 vcc, exec, s[6:7]
	s_cbranch_vccnz .LBB18_1326
; %bb.1325:
	global_load_ushort v1, v[10:11], off
	s_waitcnt vmcnt(0)
	v_cvt_f32_u32_e32 v1, v1
.LBB18_1326:
	s_mov_b64 s[6:7], 0
.LBB18_1327:
	s_andn2_b64 vcc, exec, s[6:7]
	s_cbranch_vccnz .LBB18_1335
; %bb.1328:
	global_load_ubyte v3, v[10:11], off
	s_movk_i32 s6, 0x7f
                                        ; implicit-def: $sgpr18
	s_waitcnt vmcnt(0)
	v_cmp_lt_i16_e32 vcc, s6, v3
	s_mov_b64 s[6:7], 0
	s_and_saveexec_b64 s[12:13], vcc
	s_xor_b64 s[12:13], exec, s[12:13]
	s_cbranch_execz .LBB18_1348
; %bb.1329:
	s_movk_i32 s6, 0x80
	v_cmp_eq_u16_e32 vcc, s6, v3
	s_mov_b64 s[6:7], -1
                                        ; implicit-def: $sgpr18
	s_and_saveexec_b64 s[14:15], vcc
; %bb.1330:
	s_mov_b32 s18, 0x7f800001
	s_xor_b64 s[6:7], exec, -1
; %bb.1331:
	s_or_b64 exec, exec, s[14:15]
	s_and_b64 s[6:7], s[6:7], exec
	s_or_saveexec_b64 s[12:13], s[12:13]
	v_mov_b32_e32 v1, s18
	s_xor_b64 exec, exec, s[12:13]
	s_cbranch_execnz .LBB18_1349
.LBB18_1332:
	s_or_b64 exec, exec, s[12:13]
	s_and_saveexec_b64 s[12:13], s[6:7]
	s_cbranch_execz .LBB18_1334
.LBB18_1333:
	v_lshlrev_b32_e32 v1, 24, v3
	v_and_b32_e32 v3, 0xffff, v3
	v_and_b32_e32 v5, 7, v3
	v_ffbh_u32_e32 v9, v5
	v_min_u32_e32 v9, 32, v9
	v_subrev_u32_e32 v13, 28, v9
	v_bfe_u32 v7, v3, 3, 4
	v_lshlrev_b32_e32 v3, v13, v3
	v_sub_u32_e32 v9, 29, v9
	v_and_b32_e32 v3, 7, v3
	v_cmp_eq_u32_e32 vcc, 0, v7
	v_cndmask_b32_e32 v7, v7, v9, vcc
	v_cndmask_b32_e32 v3, v5, v3, vcc
	v_mov_b32_e32 v5, 0x3b800000
	v_lshlrev_b32_e32 v3, 20, v3
	v_and_b32_e32 v1, 0x80000000, v1
	v_lshl_add_u32 v5, v7, 23, v5
	v_or3_b32 v1, v1, v5, v3
.LBB18_1334:
	s_or_b64 exec, exec, s[12:13]
.LBB18_1335:
	s_mov_b64 s[6:7], -1
.LBB18_1336:
	s_branch .LBB18_1369
.LBB18_1337:
	v_mov_b32_e32 v1, 22
	v_cmp_gt_i16_sdwa s[4:5], s17, v1 src0_sel:BYTE_0 src1_sel:DWORD
	s_and_b64 vcc, exec, s[4:5]
	s_cbranch_vccz .LBB18_1347
; %bb.1338:
	v_mov_b32_e32 v1, 24
	v_cmp_lt_i16_sdwa s[4:5], s17, v1 src0_sel:BYTE_0 src1_sel:DWORD
	s_and_b64 vcc, exec, s[4:5]
	s_cbranch_vccnz .LBB18_1350
; %bb.1339:
	v_cmp_gt_i16_sdwa s[4:5], s17, v1 src0_sel:BYTE_0 src1_sel:DWORD
	s_and_b64 vcc, exec, s[4:5]
	s_cbranch_vccz .LBB18_1351
; %bb.1340:
	global_load_ubyte v3, v[10:11], off
	s_movk_i32 s4, 0x7f
                                        ; implicit-def: $sgpr14
	s_waitcnt vmcnt(0)
	v_cmp_lt_i16_e32 vcc, s4, v3
	s_mov_b64 s[4:5], 0
	s_and_saveexec_b64 s[6:7], vcc
	s_xor_b64 s[6:7], exec, s[6:7]
	s_cbranch_execz .LBB18_1363
; %bb.1341:
	s_movk_i32 s4, 0x80
	v_cmp_eq_u16_e32 vcc, s4, v3
	s_mov_b64 s[4:5], -1
                                        ; implicit-def: $sgpr14
	s_and_saveexec_b64 s[12:13], vcc
; %bb.1342:
	s_mov_b32 s14, 0x7f800001
	s_xor_b64 s[4:5], exec, -1
; %bb.1343:
	s_or_b64 exec, exec, s[12:13]
	s_and_b64 s[4:5], s[4:5], exec
	s_or_saveexec_b64 s[6:7], s[6:7]
	v_mov_b32_e32 v1, s14
	s_xor_b64 exec, exec, s[6:7]
	s_cbranch_execnz .LBB18_1364
.LBB18_1344:
	s_or_b64 exec, exec, s[6:7]
	s_and_saveexec_b64 s[6:7], s[4:5]
	s_cbranch_execz .LBB18_1346
.LBB18_1345:
	v_lshlrev_b32_e32 v1, 24, v3
	v_and_b32_e32 v3, 0xffff, v3
	v_and_b32_e32 v5, 3, v3
	v_ffbh_u32_e32 v9, v5
	v_min_u32_e32 v9, 32, v9
	v_subrev_u32_e32 v13, 29, v9
	v_bfe_u32 v7, v3, 2, 5
	v_lshlrev_b32_e32 v3, v13, v3
	v_sub_u32_e32 v9, 30, v9
	v_and_b32_e32 v3, 3, v3
	v_cmp_eq_u32_e32 vcc, 0, v7
	v_cndmask_b32_e32 v7, v7, v9, vcc
	v_cndmask_b32_e32 v3, v5, v3, vcc
	v_mov_b32_e32 v5, 0x37800000
	v_lshlrev_b32_e32 v3, 21, v3
	v_and_b32_e32 v1, 0x80000000, v1
	v_lshl_add_u32 v5, v7, 23, v5
	v_or3_b32 v1, v1, v5, v3
.LBB18_1346:
	s_or_b64 exec, exec, s[6:7]
	s_mov_b64 s[4:5], 0
	s_branch .LBB18_1352
.LBB18_1347:
	s_mov_b64 s[4:5], -1
                                        ; implicit-def: $vgpr1
	s_branch .LBB18_1358
.LBB18_1348:
	s_or_saveexec_b64 s[12:13], s[12:13]
	v_mov_b32_e32 v1, s18
	s_xor_b64 exec, exec, s[12:13]
	s_cbranch_execz .LBB18_1332
.LBB18_1349:
	v_cmp_ne_u16_e32 vcc, 0, v3
	s_andn2_b64 s[6:7], s[6:7], exec
	s_and_b64 s[14:15], vcc, exec
	v_mov_b32_e32 v1, 0
	s_or_b64 s[6:7], s[6:7], s[14:15]
	s_or_b64 exec, exec, s[12:13]
	s_and_saveexec_b64 s[12:13], s[6:7]
	s_cbranch_execnz .LBB18_1333
	s_branch .LBB18_1334
.LBB18_1350:
	s_mov_b64 s[4:5], -1
                                        ; implicit-def: $vgpr1
	s_branch .LBB18_1355
.LBB18_1351:
	s_mov_b64 s[4:5], -1
                                        ; implicit-def: $vgpr1
.LBB18_1352:
	s_and_b64 vcc, exec, s[4:5]
	s_cbranch_vccz .LBB18_1354
; %bb.1353:
	global_load_ubyte v1, v[10:11], off
	s_mov_b32 s4, 0x7f800000
	s_waitcnt vmcnt(0)
	v_lshlrev_b32_e32 v1, 24, v1
	v_and_b32_e32 v3, 0x7f000000, v1
	v_ffbh_u32_e32 v5, v3
	v_min_u32_e32 v5, 32, v5
	v_sub_u32_e64 v5, v5, 4 clamp
	v_lshlrev_b32_e32 v9, v5, v3
	v_lshlrev_b32_e32 v5, 23, v5
	v_lshrrev_b32_e32 v9, 4, v9
	v_add_u32_e32 v7, 0x1000000, v3
	v_sub_u32_e32 v5, v9, v5
	v_ashrrev_i32_e32 v7, 8, v7
	v_add_u32_e32 v5, 0x3c000000, v5
	v_and_or_b32 v5, v7, s4, v5
	v_cmp_ne_u32_e32 vcc, 0, v3
	v_cndmask_b32_e32 v3, 0, v5, vcc
	s_brev_b32 s4, 1
	v_and_or_b32 v1, v1, s4, v3
.LBB18_1354:
	s_mov_b64 s[4:5], 0
.LBB18_1355:
	s_andn2_b64 vcc, exec, s[4:5]
	s_cbranch_vccnz .LBB18_1357
; %bb.1356:
	global_load_ubyte v1, v[10:11], off
	s_movk_i32 s4, 0x7f00
	s_brev_b32 s5, 16
	s_waitcnt vmcnt(0)
	v_lshlrev_b16_e32 v3, 8, v1
	v_lshlrev_b32_e32 v1, 25, v1
	v_lshrrev_b32_e32 v5, 4, v1
	v_and_or_b32 v7, v3, s4, 0.5
	v_or_b32_e32 v5, 0x70000000, v5
	v_add_f32_e32 v7, -0.5, v7
	v_mul_f32_e32 v5, 0x7800000, v5
	v_cmp_gt_u32_e32 vcc, s5, v1
	v_bfe_i32 v3, v3, 0, 16
	v_cndmask_b32_e32 v1, v5, v7, vcc
	s_brev_b32 s4, 1
	v_and_or_b32 v1, v3, s4, v1
.LBB18_1357:
	s_mov_b64 s[4:5], 0
	s_mov_b64 s[6:7], -1
.LBB18_1358:
	s_andn2_b64 vcc, exec, s[4:5]
	s_mov_b64 s[4:5], 0
	s_cbranch_vccnz .LBB18_1369
; %bb.1359:
	v_mov_b32_e32 v1, 14
	v_cmp_gt_i16_sdwa s[4:5], s17, v1 src0_sel:BYTE_0 src1_sel:DWORD
	s_and_b64 vcc, exec, s[4:5]
	s_cbranch_vccz .LBB18_1362
; %bb.1360:
	v_mov_b32_e32 v1, 15
	v_cmp_eq_u16_sdwa s[0:1], s17, v1 src0_sel:BYTE_0 src1_sel:DWORD
	s_and_b64 vcc, exec, s[0:1]
	s_cbranch_vccz .LBB18_1365
; %bb.1361:
	global_load_ushort v1, v[10:11], off
	s_mov_b64 s[0:1], 0
	s_mov_b64 s[6:7], -1
	s_waitcnt vmcnt(0)
	v_lshlrev_b32_e32 v1, 16, v1
	s_branch .LBB18_1366
.LBB18_1362:
	s_mov_b64 s[12:13], -1
                                        ; implicit-def: $vgpr1
	s_branch .LBB18_1367
.LBB18_1363:
	s_or_saveexec_b64 s[6:7], s[6:7]
	v_mov_b32_e32 v1, s14
	s_xor_b64 exec, exec, s[6:7]
	s_cbranch_execz .LBB18_1344
.LBB18_1364:
	v_cmp_ne_u16_e32 vcc, 0, v3
	s_andn2_b64 s[4:5], s[4:5], exec
	s_and_b64 s[12:13], vcc, exec
	v_mov_b32_e32 v1, 0
	s_or_b64 s[4:5], s[4:5], s[12:13]
	s_or_b64 exec, exec, s[6:7]
	s_and_saveexec_b64 s[6:7], s[4:5]
	s_cbranch_execnz .LBB18_1345
	s_branch .LBB18_1346
.LBB18_1365:
	s_mov_b64 s[0:1], -1
                                        ; implicit-def: $vgpr1
.LBB18_1366:
	s_mov_b64 s[12:13], 0
.LBB18_1367:
	s_mov_b64 s[4:5], 0
	s_and_b64 vcc, exec, s[12:13]
	s_cbranch_vccz .LBB18_1369
; %bb.1368:
	v_mov_b32_e32 v1, 11
	v_cmp_ne_u16_sdwa s[0:1], s17, v1 src0_sel:BYTE_0 src1_sel:DWORD
	s_mov_b64 s[4:5], -1
                                        ; implicit-def: $vgpr1
.LBB18_1369:
	s_and_b64 vcc, exec, s[0:1]
	s_cbranch_vccnz .LBB18_1436
; %bb.1370:
	s_andn2_b64 vcc, exec, s[4:5]
	s_cbranch_vccnz .LBB18_1372
.LBB18_1371:
	global_load_ubyte v1, v[10:11], off
	s_mov_b64 s[6:7], -1
	s_waitcnt vmcnt(0)
	v_cmp_ne_u16_e32 vcc, 0, v1
	v_cndmask_b32_e64 v1, 0, 1.0, vcc
.LBB18_1372:
	s_branch .LBB18_1299
.LBB18_1373:
	v_mov_b32_e32 v1, 5
	v_cmp_lt_i16_sdwa s[0:1], s17, v1 src0_sel:BYTE_0 src1_sel:DWORD
	s_and_b64 vcc, exec, s[0:1]
	s_cbranch_vccnz .LBB18_1378
; %bb.1374:
	v_mov_b32_e32 v1, 8
	v_cmp_lt_i16_sdwa s[0:1], s17, v1 src0_sel:BYTE_0 src1_sel:DWORD
	s_and_b64 vcc, exec, s[0:1]
	s_cbranch_vccnz .LBB18_1379
; %bb.1375:
	;; [unrolled: 5-line block ×3, first 2 shown]
	v_cmp_gt_i16_sdwa s[0:1], s17, v1 src0_sel:BYTE_0 src1_sel:DWORD
	s_and_b64 vcc, exec, s[0:1]
	s_cbranch_vccz .LBB18_1381
; %bb.1377:
	global_load_dwordx2 v[16:17], v[10:11], off
	s_mov_b64 s[0:1], 0
	s_waitcnt vmcnt(0)
	v_cvt_f32_f64_e32 v1, v[16:17]
	s_branch .LBB18_1382
.LBB18_1378:
                                        ; implicit-def: $vgpr1
	s_branch .LBB18_1400
.LBB18_1379:
	s_mov_b64 s[0:1], -1
                                        ; implicit-def: $vgpr1
	s_branch .LBB18_1388
.LBB18_1380:
	s_mov_b64 s[0:1], -1
                                        ; implicit-def: $vgpr1
	s_branch .LBB18_1385
.LBB18_1381:
	s_mov_b64 s[0:1], -1
                                        ; implicit-def: $vgpr1
.LBB18_1382:
	s_andn2_b64 vcc, exec, s[0:1]
	s_cbranch_vccnz .LBB18_1384
; %bb.1383:
	global_load_dword v1, v[10:11], off
.LBB18_1384:
	s_mov_b64 s[0:1], 0
.LBB18_1385:
	s_andn2_b64 vcc, exec, s[0:1]
	s_cbranch_vccnz .LBB18_1387
; %bb.1386:
	global_load_dword v1, v[10:11], off
	s_waitcnt vmcnt(0)
	v_cvt_f32_f16_e32 v1, v1
.LBB18_1387:
	s_mov_b64 s[0:1], 0
.LBB18_1388:
	s_andn2_b64 vcc, exec, s[0:1]
	s_cbranch_vccnz .LBB18_1399
; %bb.1389:
	s_waitcnt vmcnt(0)
	v_mov_b32_e32 v1, 6
	v_cmp_lt_i16_sdwa s[0:1], s17, v1 src0_sel:BYTE_0 src1_sel:DWORD
	s_and_b64 vcc, exec, s[0:1]
	s_cbranch_vccnz .LBB18_1392
; %bb.1390:
	v_cmp_gt_i16_sdwa s[0:1], s17, v1 src0_sel:BYTE_0 src1_sel:DWORD
	s_and_b64 vcc, exec, s[0:1]
	s_cbranch_vccz .LBB18_1393
; %bb.1391:
	global_load_dwordx2 v[16:17], v[10:11], off
	s_mov_b64 s[0:1], 0
	s_waitcnt vmcnt(0)
	v_cvt_f32_f64_e32 v1, v[16:17]
	s_branch .LBB18_1394
.LBB18_1392:
	s_mov_b64 s[0:1], -1
                                        ; implicit-def: $vgpr1
	s_branch .LBB18_1397
.LBB18_1393:
	s_mov_b64 s[0:1], -1
                                        ; implicit-def: $vgpr1
.LBB18_1394:
	s_andn2_b64 vcc, exec, s[0:1]
	s_cbranch_vccnz .LBB18_1396
; %bb.1395:
	global_load_dword v1, v[10:11], off
.LBB18_1396:
	s_mov_b64 s[0:1], 0
.LBB18_1397:
	s_andn2_b64 vcc, exec, s[0:1]
	s_cbranch_vccnz .LBB18_1399
; %bb.1398:
	global_load_ushort v1, v[10:11], off
	s_waitcnt vmcnt(0)
	v_cvt_f32_f16_e32 v1, v1
.LBB18_1399:
	s_cbranch_execnz .LBB18_1419
.LBB18_1400:
	s_waitcnt vmcnt(0)
	v_mov_b32_e32 v1, 2
	v_cmp_lt_i16_sdwa s[0:1], s17, v1 src0_sel:BYTE_0 src1_sel:DWORD
	s_and_b64 vcc, exec, s[0:1]
	s_cbranch_vccnz .LBB18_1404
; %bb.1401:
	v_mov_b32_e32 v1, 3
	v_cmp_lt_i16_sdwa s[0:1], s17, v1 src0_sel:BYTE_0 src1_sel:DWORD
	s_and_b64 vcc, exec, s[0:1]
	s_cbranch_vccnz .LBB18_1405
; %bb.1402:
	v_cmp_gt_i16_sdwa s[0:1], s17, v1 src0_sel:BYTE_0 src1_sel:DWORD
	s_and_b64 vcc, exec, s[0:1]
	s_cbranch_vccz .LBB18_1406
; %bb.1403:
	global_load_dwordx2 v[16:17], v[10:11], off
	s_mov_b64 s[0:1], 0
	s_waitcnt vmcnt(0)
	v_xor_b32_e32 v3, v16, v17
	v_ffbh_i32_e32 v1, v17
	v_ashrrev_i32_e32 v3, 31, v3
	v_add_u32_e32 v1, -1, v1
	v_add_u32_e32 v3, 32, v3
	v_min_u32_e32 v1, v1, v3
	v_lshlrev_b64 v[16:17], v1, v[16:17]
	v_min_u32_e32 v3, 1, v16
	v_or_b32_e32 v3, v17, v3
	v_cvt_f32_i32_e32 v3, v3
	v_sub_u32_e32 v1, 32, v1
	v_ldexp_f32 v1, v3, v1
	s_branch .LBB18_1407
.LBB18_1404:
	s_mov_b64 s[0:1], -1
                                        ; implicit-def: $vgpr1
	s_branch .LBB18_1413
.LBB18_1405:
	s_mov_b64 s[0:1], -1
                                        ; implicit-def: $vgpr1
	s_branch .LBB18_1410
.LBB18_1406:
	s_mov_b64 s[0:1], -1
                                        ; implicit-def: $vgpr1
.LBB18_1407:
	s_andn2_b64 vcc, exec, s[0:1]
	s_cbranch_vccnz .LBB18_1409
; %bb.1408:
	global_load_dword v1, v[10:11], off
	s_waitcnt vmcnt(0)
	v_cvt_f32_i32_e32 v1, v1
.LBB18_1409:
	s_mov_b64 s[0:1], 0
.LBB18_1410:
	s_andn2_b64 vcc, exec, s[0:1]
	s_cbranch_vccnz .LBB18_1412
; %bb.1411:
	global_load_sshort v1, v[10:11], off
	s_waitcnt vmcnt(0)
	v_cvt_f32_i32_e32 v1, v1
.LBB18_1412:
	s_mov_b64 s[0:1], 0
.LBB18_1413:
	s_andn2_b64 vcc, exec, s[0:1]
	s_cbranch_vccnz .LBB18_1419
; %bb.1414:
	v_mov_b32_e32 v1, 0
	v_cmp_gt_i16_sdwa s[0:1], s17, v1 src0_sel:BYTE_0 src1_sel:DWORD
	s_and_b64 vcc, exec, s[0:1]
	s_cbranch_vccz .LBB18_1416
; %bb.1415:
	global_load_sbyte v1, v[10:11], off
	s_mov_b64 s[0:1], 0
	s_waitcnt vmcnt(0)
	v_cvt_f32_i32_e32 v1, v1
	s_branch .LBB18_1417
.LBB18_1416:
	s_mov_b64 s[0:1], -1
                                        ; implicit-def: $vgpr1
.LBB18_1417:
	s_andn2_b64 vcc, exec, s[0:1]
	s_cbranch_vccnz .LBB18_1419
; %bb.1418:
	global_load_ubyte v1, v[10:11], off
	s_waitcnt vmcnt(0)
	v_cvt_f32_ubyte0_e32 v1, v1
.LBB18_1419:
.LBB18_1420:
	s_mov_b32 s0, 0x41000000
	s_waitcnt vmcnt(0)
	v_cmp_le_f32_e64 s[0:1], |v1|, s0
                                        ; implicit-def: $vgpr10
	s_and_saveexec_b64 s[4:5], s[0:1]
	s_xor_b64 s[0:1], exec, s[4:5]
	s_cbranch_execz .LBB18_1422
; %bb.1421:
	v_fma_f32 v3, |v1|, 0.5, -2.0
	v_mov_b32_e32 v5, 0x24199b15
	v_fmac_f32_e32 v5, 0xa2a2e5b9, v3
	v_mov_b32_e32 v7, 0x22a2e5b9
	v_fmac_f32_e32 v7, v3, v5
	v_add_f32_e32 v7, 0xa58c275c, v7
	v_fma_f32 v5, v3, v7, -v5
	v_add_f32_e32 v5, 0x26f736c5, v5
	v_fma_f32 v7, v3, v5, -v7
	;; [unrolled: 2-line block ×22, first 2 shown]
	v_add_f32_e32 v7, 0xbcc274f8, v7
	s_mov_b32 s4, 0x3fb8aa3b
	v_fma_f32 v5, v3, v7, -v5
	v_mul_f32_e64 v9, |v1|, s4
	v_add_f32_e32 v5, 0x3d49f456, v5
	v_rndne_f32_e32 v10, v9
	v_fma_f32 v7, v3, v5, -v7
	v_sub_f32_e32 v11, v9, v10
	v_fma_f32 v9, |v1|, s4, -v9
	s_mov_b32 s4, 0x32a5705f
	v_add_f32_e32 v7, 0xbdc25b82, v7
	v_fma_f32 v9, |v1|, s4, v9
	v_fma_f32 v5, v3, v7, -v5
	v_add_f32_e32 v9, v11, v9
	v_add_f32_e32 v5, 0x3e2fbd64, v5
	v_exp_f32_e32 v9, v9
	v_cvt_i32_f32_e32 v10, v10
	v_fma_f32 v7, v3, v5, -v7
	v_add_f32_e32 v7, 0xbe9bff5e, v7
	v_fma_f32 v3, v3, v7, -v5
	s_mov_b32 s4, 0xc2ce8ed0
	v_add_f32_e32 v3, 0x3f2d4275, v3
	v_ldexp_f32 v7, v9, v10
	v_cmp_nlt_f32_e64 vcc, |v1|, s4
	s_mov_b32 s4, 0x42b17218
	v_cndmask_b32_e32 v7, 0, v7, vcc
	v_mov_b32_e32 v9, 0x7f800000
	v_cmp_ngt_f32_e64 vcc, |v1|, s4
	v_sub_f32_e32 v3, v3, v5
	v_cndmask_b32_e32 v1, v9, v7, vcc
	v_mul_f32_e32 v3, 0.5, v3
	v_mul_f32_e32 v10, v1, v3
                                        ; implicit-def: $vgpr1
.LBB18_1422:
	s_andn2_saveexec_b64 s[4:5], s[0:1]
	s_cbranch_execz .LBB18_1424
; %bb.1423:
	v_and_b32_e32 v3, 0x7fffffff, v1
	s_mov_b32 s6, 0x42000000
	v_div_scale_f32 v5, s[0:1], v3, v3, s6
	v_rcp_f32_e32 v7, v5
	v_div_scale_f32 v3, vcc, s6, v3, s6
	s_mov_b32 s0, 0x3fb8aa3b
	v_fma_f32 v9, -v5, v7, 1.0
	v_fmac_f32_e32 v7, v9, v7
	v_mul_f32_e32 v9, v3, v7
	v_fma_f32 v10, -v5, v9, v3
	v_fmac_f32_e32 v9, v10, v7
	v_fma_f32 v3, -v5, v9, v3
	v_div_fmas_f32 v3, v3, v7, v9
	v_div_fixup_f32 v3, v3, |v1|, s6
	v_add_f32_e32 v3, -2.0, v3
	v_mov_b32_e32 v5, 0xa2b236d3
	v_fmac_f32_e32 v5, 0xa3056dbb, v3
	v_mov_b32_e32 v7, 0x23056dbb
	v_fmac_f32_e32 v7, v3, v5
	v_add_f32_e32 v7, 0x244df0c1, v7
	v_fma_f32 v5, v3, v7, -v5
	v_add_f32_e32 v5, 0x241f9ee8, v5
	v_fma_f32 v7, v3, v5, -v7
	v_add_f32_e32 v7, 0xa5a3005d, v7
	v_fma_f32 v5, v3, v7, -v5
	v_add_f32_e32 v5, 0xa5c5773f, v5
	v_fma_f32 v7, v3, v5, -v7
	v_add_f32_e32 v7, 0x26ff73ed, v7
	v_fma_f32 v5, v3, v7, -v5
	v_add_f32_e32 v5, 0x2789548d, v5
	v_fma_f32 v7, v3, v5, -v7
	v_add_f32_e32 v7, 0xa82c1ff4, v7
	v_fma_f32 v5, v3, v7, -v5
	v_add_f32_e32 v5, 0xa93aecce, v5
	v_fma_f32 v7, v3, v5, -v7
	v_add_f32_e32 v7, 0x288ab7f8, v7
	v_fma_f32 v5, v3, v7, -v5
	v_add_f32_e32 v5, 0x2ad8e463, v5
	v_fma_f32 v7, v3, v5, -v7
	v_add_f32_e32 v7, 0x2b4a1a40, v7
	v_fma_f32 v5, v3, v7, -v5
	v_add_f32_e32 v5, 0xabfc8218, v5
	v_fma_f32 v7, v3, v5, -v7
	v_add_f32_e32 v7, 0xad687eba, v7
	v_fma_f32 v5, v3, v7, -v5
	v_add_f32_e32 v5, 0xae0a88e8, v5
	v_fma_f32 v7, v3, v5, -v7
	v_add_f32_e32 v7, 0x2d5127f5, v7
	v_fma_f32 v5, v3, v7, -v5
	v_add_f32_e32 v5, 0x3007ce66, v5
	v_fma_f32 v7, v3, v5, -v7
	v_add_f32_e32 v7, 0x31696325, v7
	v_fma_f32 v5, v3, v7, -v5
	v_add_f32_e32 v5, 0x32c2b494, v5
	v_mul_f32_e64 v9, |v1|, s0
	v_fma_f32 v7, v3, v5, -v7
	v_rndne_f32_e32 v10, v9
	v_add_f32_e32 v7, 0x345c003f, v7
	v_sub_f32_e32 v11, v9, v10
	v_fma_f32 v9, |v1|, s0, -v9
	s_mov_b32 s0, 0x32a5705f
	v_fma_f32 v5, v3, v7, -v5
	v_fma_f32 v9, |v1|, s0, v9
	v_add_f32_e32 v5, 0x3642095e, v5
	v_add_f32_e32 v9, v11, v9
	v_fma_f32 v7, v3, v5, -v7
	v_exp_f32_e32 v9, v9
	v_cvt_i32_f32_e32 v10, v10
	v_add_f32_e32 v7, 0x38907d1c, v7
	v_fma_f32 v5, v3, v7, -v5
	v_add_f32_e32 v5, 0x3b5ccc65, v5
	s_mov_b32 s0, 0xc2ce8ed0
	v_fma_f32 v3, v3, v5, -v7
	v_ldexp_f32 v5, v9, v10
	v_cmp_nlt_f32_e64 vcc, |v1|, s0
	s_mov_b32 s0, 0x42b17218
	v_cndmask_b32_e32 v5, 0, v5, vcc
	v_mov_b32_e32 v9, 0x7f800000
	v_cmp_ngt_f32_e64 vcc, |v1|, s0
	s_mov_b32 s0, 0xf800000
	s_mov_b32 s1, 0x4f800000
	v_cndmask_b32_e32 v5, v9, v5, vcc
	v_mul_f32_e64 v9, |v1|, s1
	v_cmp_lt_f32_e64 vcc, |v1|, s0
	v_cndmask_b32_e64 v1, |v1|, v9, vcc
	v_sqrt_f32_e32 v9, v1
	v_add_f32_e32 v3, 0x3f4df315, v3
	v_sub_f32_e32 v3, v3, v7
	v_mul_f32_e32 v3, 0.5, v3
	v_mul_f32_e32 v3, v5, v3
	v_add_u32_e32 v5, -1, v9
	v_fma_f32 v7, -v5, v9, v1
	v_cmp_ge_f32_e64 s[0:1], 0, v7
	v_add_u32_e32 v7, 1, v9
	v_cndmask_b32_e64 v5, v9, v5, s[0:1]
	v_fma_f32 v9, -v7, v9, v1
	v_cmp_lt_f32_e64 s[0:1], 0, v9
	v_cndmask_b32_e64 v5, v5, v7, s[0:1]
	v_mul_f32_e32 v7, 0x37800000, v5
	v_cndmask_b32_e32 v5, v5, v7, vcc
	v_mov_b32_e32 v7, 0x260
	v_cmp_class_f32_e32 vcc, v1, v7
	v_cndmask_b32_e32 v1, v5, v1, vcc
	v_div_scale_f32 v5, s[0:1], v1, v1, v3
	v_rcp_f32_e32 v7, v5
	v_fma_f32 v9, -v5, v7, 1.0
	v_fmac_f32_e32 v7, v9, v7
	v_div_scale_f32 v9, vcc, v3, v1, v3
	v_mul_f32_e32 v10, v9, v7
	v_fma_f32 v11, -v5, v10, v9
	v_fmac_f32_e32 v10, v11, v7
	v_fma_f32 v5, -v5, v10, v9
	v_div_fmas_f32 v5, v5, v7, v10
	v_div_fixup_f32 v10, v5, v1, v3
.LBB18_1424:
	s_or_b64 exec, exec, s[4:5]
	v_mov_b32_e32 v1, s11
	v_add_co_u32_e32 v12, vcc, s10, v12
	v_addc_co_u32_e32 v13, vcc, 0, v1, vcc
	v_mov_b32_e32 v1, 11
	v_cmp_lt_i16_sdwa s[0:1], s17, v1 src0_sel:BYTE_0 src1_sel:DWORD
	s_and_b64 vcc, exec, s[0:1]
	s_cbranch_vccnz .LBB18_1431
; %bb.1425:
	v_mov_b32_e32 v1, 25
	v_cmp_gt_i16_sdwa s[0:1], s17, v1 src0_sel:BYTE_0 src1_sel:DWORD
	s_mov_b64 s[4:5], 0
	s_and_b64 vcc, exec, s[0:1]
	s_cbranch_vccz .LBB18_1433
; %bb.1426:
	v_mov_b32_e32 v1, 28
	v_cmp_gt_i16_sdwa s[0:1], s17, v1 src0_sel:BYTE_0 src1_sel:DWORD
	s_and_b64 vcc, exec, s[0:1]
	s_cbranch_vccz .LBB18_1434
; %bb.1427:
	v_mov_b32_e32 v1, 43
	v_cmp_gt_i16_sdwa s[0:1], s17, v1 src0_sel:BYTE_0 src1_sel:DWORD
	;; [unrolled: 5-line block ×3, first 2 shown]
	s_and_b64 vcc, exec, s[0:1]
	s_cbranch_vccz .LBB18_1437
; %bb.1429:
	v_mov_b32_e32 v1, 46
	v_cmp_eq_u16_sdwa s[0:1], s17, v1 src0_sel:BYTE_0 src1_sel:DWORD
	s_mov_b64 s[12:13], 0
	s_and_b64 vcc, exec, s[0:1]
	s_cbranch_vccz .LBB18_1438
; %bb.1430:
	global_load_dword v1, v[12:13], off
	s_mov_b64 s[0:1], 0
	s_mov_b64 s[6:7], -1
	s_waitcnt vmcnt(0)
	v_lshlrev_b32_e32 v1, 16, v1
	s_branch .LBB18_1439
.LBB18_1431:
	s_mov_b64 s[6:7], 0
                                        ; implicit-def: $vgpr1
	s_cbranch_execnz .LBB18_1505
.LBB18_1432:
	s_andn2_b64 vcc, exec, s[6:7]
	s_cbranch_vccnz .LBB18_1698
	s_branch .LBB18_1553
.LBB18_1433:
	s_mov_b64 s[12:13], -1
	s_mov_b64 s[6:7], 0
	s_mov_b64 s[0:1], 0
                                        ; implicit-def: $vgpr1
	s_branch .LBB18_1468
.LBB18_1434:
	s_mov_b64 s[12:13], -1
	s_mov_b64 s[6:7], 0
	s_mov_b64 s[0:1], 0
                                        ; implicit-def: $vgpr1
	s_branch .LBB18_1449
.LBB18_1435:
	s_mov_b64 s[12:13], -1
	s_mov_b64 s[6:7], 0
	s_mov_b64 s[0:1], 0
                                        ; implicit-def: $vgpr1
	s_branch .LBB18_1444
.LBB18_1436:
	s_trap 2
	s_or_b64 s[2:3], s[2:3], exec
                                        ; implicit-def: $vgpr1
	s_cbranch_execz .LBB18_1371
	s_branch .LBB18_1372
.LBB18_1437:
	s_mov_b64 s[12:13], -1
	s_mov_b64 s[6:7], 0
	s_mov_b64 s[0:1], 0
                                        ; implicit-def: $vgpr1
	s_branch .LBB18_1439
.LBB18_1438:
	s_mov_b64 s[0:1], -1
                                        ; implicit-def: $vgpr1
	s_mov_b64 s[6:7], 0
.LBB18_1439:
	s_and_b64 vcc, exec, s[12:13]
	s_cbranch_vccz .LBB18_1443
; %bb.1440:
	v_mov_b32_e32 v1, 44
	v_cmp_eq_u16_sdwa s[0:1], s17, v1 src0_sel:BYTE_0 src1_sel:DWORD
	s_and_b64 vcc, exec, s[0:1]
	s_cbranch_vccz .LBB18_1442
; %bb.1441:
	global_load_ubyte v1, v[12:13], off
	s_movk_i32 s6, 0xff
	v_mov_b32_e32 v3, 0x7f800001
	v_mov_b32_e32 v5, 0x400000
	s_mov_b64 s[0:1], 0
	s_waitcnt vmcnt(0)
	v_lshlrev_b32_e32 v7, 23, v1
	v_cmp_ne_u32_e32 vcc, s6, v1
	v_cndmask_b32_e32 v3, v3, v7, vcc
	v_cmp_ne_u32_e32 vcc, 0, v1
	v_cndmask_b32_e32 v1, v5, v3, vcc
	s_mov_b64 s[6:7], -1
	s_branch .LBB18_1443
.LBB18_1442:
	s_mov_b64 s[0:1], -1
                                        ; implicit-def: $vgpr1
.LBB18_1443:
	s_mov_b64 s[12:13], 0
.LBB18_1444:
	s_and_b64 vcc, exec, s[12:13]
	s_cbranch_vccz .LBB18_1448
; %bb.1445:
	v_mov_b32_e32 v1, 29
	v_cmp_eq_u16_sdwa s[0:1], s17, v1 src0_sel:BYTE_0 src1_sel:DWORD
	s_and_b64 vcc, exec, s[0:1]
	s_cbranch_vccz .LBB18_1447
; %bb.1446:
	global_load_dwordx2 v[16:17], v[12:13], off
	s_mov_b64 s[0:1], 0
	s_mov_b64 s[6:7], -1
	s_mov_b64 s[12:13], 0
	s_waitcnt vmcnt(0)
	v_ffbh_u32_e32 v1, v17
	v_min_u32_e32 v1, 32, v1
	v_lshlrev_b64 v[16:17], v1, v[16:17]
	v_min_u32_e32 v3, 1, v16
	v_or_b32_e32 v3, v17, v3
	v_cvt_f32_u32_e32 v3, v3
	v_sub_u32_e32 v1, 32, v1
	v_ldexp_f32 v1, v3, v1
	s_branch .LBB18_1449
.LBB18_1447:
	s_mov_b64 s[0:1], -1
                                        ; implicit-def: $vgpr1
.LBB18_1448:
	s_mov_b64 s[12:13], 0
.LBB18_1449:
	s_and_b64 vcc, exec, s[12:13]
	s_cbranch_vccz .LBB18_1467
; %bb.1450:
	v_mov_b32_e32 v1, 27
	v_cmp_lt_i16_sdwa s[6:7], s17, v1 src0_sel:BYTE_0 src1_sel:DWORD
	s_and_b64 vcc, exec, s[6:7]
	s_cbranch_vccnz .LBB18_1453
; %bb.1451:
	v_cmp_gt_i16_sdwa s[6:7], s17, v1 src0_sel:BYTE_0 src1_sel:DWORD
	s_and_b64 vcc, exec, s[6:7]
	s_cbranch_vccz .LBB18_1454
; %bb.1452:
	global_load_dword v1, v[12:13], off
	s_mov_b64 s[6:7], 0
	s_waitcnt vmcnt(0)
	v_cvt_f32_u32_e32 v1, v1
	s_branch .LBB18_1455
.LBB18_1453:
	s_mov_b64 s[6:7], -1
                                        ; implicit-def: $vgpr1
	s_branch .LBB18_1458
.LBB18_1454:
	s_mov_b64 s[6:7], -1
                                        ; implicit-def: $vgpr1
.LBB18_1455:
	s_andn2_b64 vcc, exec, s[6:7]
	s_cbranch_vccnz .LBB18_1457
; %bb.1456:
	global_load_ushort v1, v[12:13], off
	s_waitcnt vmcnt(0)
	v_cvt_f32_u32_e32 v1, v1
.LBB18_1457:
	s_mov_b64 s[6:7], 0
.LBB18_1458:
	s_andn2_b64 vcc, exec, s[6:7]
	s_cbranch_vccnz .LBB18_1466
; %bb.1459:
	global_load_ubyte v3, v[12:13], off
	s_movk_i32 s6, 0x7f
                                        ; implicit-def: $sgpr18
	s_waitcnt vmcnt(0)
	v_cmp_lt_i16_e32 vcc, s6, v3
	s_mov_b64 s[6:7], 0
	s_and_saveexec_b64 s[12:13], vcc
	s_xor_b64 s[12:13], exec, s[12:13]
	s_cbranch_execz .LBB18_1480
; %bb.1460:
	s_movk_i32 s6, 0x80
	v_cmp_eq_u16_e32 vcc, s6, v3
	s_mov_b64 s[6:7], -1
                                        ; implicit-def: $sgpr18
	s_and_saveexec_b64 s[14:15], vcc
; %bb.1461:
	s_mov_b32 s18, 0x7f800001
	s_xor_b64 s[6:7], exec, -1
; %bb.1462:
	s_or_b64 exec, exec, s[14:15]
	s_and_b64 s[6:7], s[6:7], exec
	s_or_saveexec_b64 s[12:13], s[12:13]
	v_mov_b32_e32 v1, s18
	s_xor_b64 exec, exec, s[12:13]
	s_cbranch_execnz .LBB18_1481
.LBB18_1463:
	s_or_b64 exec, exec, s[12:13]
	s_and_saveexec_b64 s[12:13], s[6:7]
	s_cbranch_execz .LBB18_1465
.LBB18_1464:
	v_lshlrev_b32_e32 v1, 24, v3
	v_and_b32_e32 v3, 0xffff, v3
	v_and_b32_e32 v5, 7, v3
	v_ffbh_u32_e32 v9, v5
	v_min_u32_e32 v9, 32, v9
	v_subrev_u32_e32 v11, 28, v9
	v_bfe_u32 v7, v3, 3, 4
	v_lshlrev_b32_e32 v3, v11, v3
	v_sub_u32_e32 v9, 29, v9
	v_and_b32_e32 v3, 7, v3
	v_cmp_eq_u32_e32 vcc, 0, v7
	v_cndmask_b32_e32 v7, v7, v9, vcc
	v_cndmask_b32_e32 v3, v5, v3, vcc
	v_mov_b32_e32 v5, 0x3b800000
	v_lshlrev_b32_e32 v3, 20, v3
	v_and_b32_e32 v1, 0x80000000, v1
	v_lshl_add_u32 v5, v7, 23, v5
	v_or3_b32 v1, v1, v5, v3
.LBB18_1465:
	s_or_b64 exec, exec, s[12:13]
.LBB18_1466:
	s_mov_b64 s[6:7], -1
.LBB18_1467:
	s_mov_b64 s[12:13], 0
.LBB18_1468:
	s_and_b64 vcc, exec, s[12:13]
	s_cbranch_vccz .LBB18_1501
; %bb.1469:
	v_mov_b32_e32 v1, 22
	v_cmp_gt_i16_sdwa s[4:5], s17, v1 src0_sel:BYTE_0 src1_sel:DWORD
	s_and_b64 vcc, exec, s[4:5]
	s_cbranch_vccz .LBB18_1479
; %bb.1470:
	v_mov_b32_e32 v1, 24
	v_cmp_lt_i16_sdwa s[4:5], s17, v1 src0_sel:BYTE_0 src1_sel:DWORD
	s_and_b64 vcc, exec, s[4:5]
	s_cbranch_vccnz .LBB18_1482
; %bb.1471:
	v_cmp_gt_i16_sdwa s[4:5], s17, v1 src0_sel:BYTE_0 src1_sel:DWORD
	s_and_b64 vcc, exec, s[4:5]
	s_cbranch_vccz .LBB18_1483
; %bb.1472:
	global_load_ubyte v3, v[12:13], off
	s_movk_i32 s4, 0x7f
                                        ; implicit-def: $sgpr14
	s_waitcnt vmcnt(0)
	v_cmp_lt_i16_e32 vcc, s4, v3
	s_mov_b64 s[4:5], 0
	s_and_saveexec_b64 s[6:7], vcc
	s_xor_b64 s[6:7], exec, s[6:7]
	s_cbranch_execz .LBB18_1495
; %bb.1473:
	s_movk_i32 s4, 0x80
	v_cmp_eq_u16_e32 vcc, s4, v3
	s_mov_b64 s[4:5], -1
                                        ; implicit-def: $sgpr14
	s_and_saveexec_b64 s[12:13], vcc
; %bb.1474:
	s_mov_b32 s14, 0x7f800001
	s_xor_b64 s[4:5], exec, -1
; %bb.1475:
	s_or_b64 exec, exec, s[12:13]
	s_and_b64 s[4:5], s[4:5], exec
	s_or_saveexec_b64 s[6:7], s[6:7]
	v_mov_b32_e32 v1, s14
	s_xor_b64 exec, exec, s[6:7]
	s_cbranch_execnz .LBB18_1496
.LBB18_1476:
	s_or_b64 exec, exec, s[6:7]
	s_and_saveexec_b64 s[6:7], s[4:5]
	s_cbranch_execz .LBB18_1478
.LBB18_1477:
	v_lshlrev_b32_e32 v1, 24, v3
	v_and_b32_e32 v3, 0xffff, v3
	v_and_b32_e32 v5, 3, v3
	v_ffbh_u32_e32 v9, v5
	v_min_u32_e32 v9, 32, v9
	v_subrev_u32_e32 v11, 29, v9
	v_bfe_u32 v7, v3, 2, 5
	v_lshlrev_b32_e32 v3, v11, v3
	v_sub_u32_e32 v9, 30, v9
	v_and_b32_e32 v3, 3, v3
	v_cmp_eq_u32_e32 vcc, 0, v7
	v_cndmask_b32_e32 v7, v7, v9, vcc
	v_cndmask_b32_e32 v3, v5, v3, vcc
	v_mov_b32_e32 v5, 0x37800000
	v_lshlrev_b32_e32 v3, 21, v3
	v_and_b32_e32 v1, 0x80000000, v1
	v_lshl_add_u32 v5, v7, 23, v5
	v_or3_b32 v1, v1, v5, v3
.LBB18_1478:
	s_or_b64 exec, exec, s[6:7]
	s_mov_b64 s[4:5], 0
	s_branch .LBB18_1484
.LBB18_1479:
	s_mov_b64 s[4:5], -1
                                        ; implicit-def: $vgpr1
	s_branch .LBB18_1490
.LBB18_1480:
	s_or_saveexec_b64 s[12:13], s[12:13]
	v_mov_b32_e32 v1, s18
	s_xor_b64 exec, exec, s[12:13]
	s_cbranch_execz .LBB18_1463
.LBB18_1481:
	v_cmp_ne_u16_e32 vcc, 0, v3
	s_andn2_b64 s[6:7], s[6:7], exec
	s_and_b64 s[14:15], vcc, exec
	v_mov_b32_e32 v1, 0
	s_or_b64 s[6:7], s[6:7], s[14:15]
	s_or_b64 exec, exec, s[12:13]
	s_and_saveexec_b64 s[12:13], s[6:7]
	s_cbranch_execnz .LBB18_1464
	s_branch .LBB18_1465
.LBB18_1482:
	s_mov_b64 s[4:5], -1
                                        ; implicit-def: $vgpr1
	s_branch .LBB18_1487
.LBB18_1483:
	s_mov_b64 s[4:5], -1
                                        ; implicit-def: $vgpr1
.LBB18_1484:
	s_and_b64 vcc, exec, s[4:5]
	s_cbranch_vccz .LBB18_1486
; %bb.1485:
	global_load_ubyte v1, v[12:13], off
	s_mov_b32 s4, 0x7f800000
	s_waitcnt vmcnt(0)
	v_lshlrev_b32_e32 v1, 24, v1
	v_and_b32_e32 v3, 0x7f000000, v1
	v_ffbh_u32_e32 v5, v3
	v_min_u32_e32 v5, 32, v5
	v_sub_u32_e64 v5, v5, 4 clamp
	v_lshlrev_b32_e32 v9, v5, v3
	v_lshlrev_b32_e32 v5, 23, v5
	v_lshrrev_b32_e32 v9, 4, v9
	v_add_u32_e32 v7, 0x1000000, v3
	v_sub_u32_e32 v5, v9, v5
	v_ashrrev_i32_e32 v7, 8, v7
	v_add_u32_e32 v5, 0x3c000000, v5
	v_and_or_b32 v5, v7, s4, v5
	v_cmp_ne_u32_e32 vcc, 0, v3
	v_cndmask_b32_e32 v3, 0, v5, vcc
	s_brev_b32 s4, 1
	v_and_or_b32 v1, v1, s4, v3
.LBB18_1486:
	s_mov_b64 s[4:5], 0
.LBB18_1487:
	s_andn2_b64 vcc, exec, s[4:5]
	s_cbranch_vccnz .LBB18_1489
; %bb.1488:
	global_load_ubyte v1, v[12:13], off
	s_movk_i32 s4, 0x7f00
	s_brev_b32 s5, 16
	s_waitcnt vmcnt(0)
	v_lshlrev_b16_e32 v3, 8, v1
	v_lshlrev_b32_e32 v1, 25, v1
	v_lshrrev_b32_e32 v5, 4, v1
	v_and_or_b32 v7, v3, s4, 0.5
	v_or_b32_e32 v5, 0x70000000, v5
	v_add_f32_e32 v7, -0.5, v7
	v_mul_f32_e32 v5, 0x7800000, v5
	v_cmp_gt_u32_e32 vcc, s5, v1
	v_bfe_i32 v3, v3, 0, 16
	v_cndmask_b32_e32 v1, v5, v7, vcc
	s_brev_b32 s4, 1
	v_and_or_b32 v1, v3, s4, v1
.LBB18_1489:
	s_mov_b64 s[4:5], 0
	s_mov_b64 s[6:7], -1
.LBB18_1490:
	s_andn2_b64 vcc, exec, s[4:5]
	s_mov_b64 s[4:5], 0
	s_cbranch_vccnz .LBB18_1501
; %bb.1491:
	v_mov_b32_e32 v1, 14
	v_cmp_gt_i16_sdwa s[4:5], s17, v1 src0_sel:BYTE_0 src1_sel:DWORD
	s_and_b64 vcc, exec, s[4:5]
	s_cbranch_vccz .LBB18_1494
; %bb.1492:
	v_mov_b32_e32 v1, 15
	v_cmp_eq_u16_sdwa s[0:1], s17, v1 src0_sel:BYTE_0 src1_sel:DWORD
	s_and_b64 vcc, exec, s[0:1]
	s_cbranch_vccz .LBB18_1497
; %bb.1493:
	global_load_ushort v1, v[12:13], off
	s_mov_b64 s[0:1], 0
	s_mov_b64 s[6:7], -1
	s_waitcnt vmcnt(0)
	v_lshlrev_b32_e32 v1, 16, v1
	s_branch .LBB18_1498
.LBB18_1494:
	s_mov_b64 s[12:13], -1
                                        ; implicit-def: $vgpr1
	s_branch .LBB18_1499
.LBB18_1495:
	s_or_saveexec_b64 s[6:7], s[6:7]
	v_mov_b32_e32 v1, s14
	s_xor_b64 exec, exec, s[6:7]
	s_cbranch_execz .LBB18_1476
.LBB18_1496:
	v_cmp_ne_u16_e32 vcc, 0, v3
	s_andn2_b64 s[4:5], s[4:5], exec
	s_and_b64 s[12:13], vcc, exec
	v_mov_b32_e32 v1, 0
	s_or_b64 s[4:5], s[4:5], s[12:13]
	s_or_b64 exec, exec, s[6:7]
	s_and_saveexec_b64 s[6:7], s[4:5]
	s_cbranch_execnz .LBB18_1477
	s_branch .LBB18_1478
.LBB18_1497:
	s_mov_b64 s[0:1], -1
                                        ; implicit-def: $vgpr1
.LBB18_1498:
	s_mov_b64 s[12:13], 0
.LBB18_1499:
	s_mov_b64 s[4:5], 0
	s_and_b64 vcc, exec, s[12:13]
	s_cbranch_vccz .LBB18_1501
; %bb.1500:
	v_mov_b32_e32 v1, 11
	v_cmp_ne_u16_sdwa s[0:1], s17, v1 src0_sel:BYTE_0 src1_sel:DWORD
	s_mov_b64 s[4:5], -1
                                        ; implicit-def: $vgpr1
.LBB18_1501:
	s_and_b64 vcc, exec, s[0:1]
	s_cbranch_vccnz .LBB18_1568
; %bb.1502:
	s_andn2_b64 vcc, exec, s[4:5]
	s_cbranch_vccnz .LBB18_1504
.LBB18_1503:
	global_load_ubyte v1, v[12:13], off
	s_mov_b64 s[6:7], -1
	s_waitcnt vmcnt(0)
	v_cmp_ne_u16_e32 vcc, 0, v1
	v_cndmask_b32_e64 v1, 0, 1.0, vcc
.LBB18_1504:
	s_branch .LBB18_1432
.LBB18_1505:
	v_mov_b32_e32 v1, 5
	v_cmp_lt_i16_sdwa s[0:1], s17, v1 src0_sel:BYTE_0 src1_sel:DWORD
	s_and_b64 vcc, exec, s[0:1]
	s_cbranch_vccnz .LBB18_1510
; %bb.1506:
	v_mov_b32_e32 v1, 8
	v_cmp_lt_i16_sdwa s[0:1], s17, v1 src0_sel:BYTE_0 src1_sel:DWORD
	s_and_b64 vcc, exec, s[0:1]
	s_cbranch_vccnz .LBB18_1511
; %bb.1507:
	;; [unrolled: 5-line block ×3, first 2 shown]
	v_cmp_gt_i16_sdwa s[0:1], s17, v1 src0_sel:BYTE_0 src1_sel:DWORD
	s_and_b64 vcc, exec, s[0:1]
	s_cbranch_vccz .LBB18_1513
; %bb.1509:
	global_load_dwordx2 v[16:17], v[12:13], off
	s_mov_b64 s[0:1], 0
	s_waitcnt vmcnt(0)
	v_cvt_f32_f64_e32 v1, v[16:17]
	s_branch .LBB18_1514
.LBB18_1510:
	s_mov_b64 s[0:1], -1
                                        ; implicit-def: $vgpr1
	s_branch .LBB18_1532
.LBB18_1511:
	s_mov_b64 s[0:1], -1
                                        ; implicit-def: $vgpr1
	s_branch .LBB18_1520
.LBB18_1512:
	s_mov_b64 s[0:1], -1
                                        ; implicit-def: $vgpr1
	s_branch .LBB18_1517
.LBB18_1513:
	s_mov_b64 s[0:1], -1
                                        ; implicit-def: $vgpr1
.LBB18_1514:
	s_andn2_b64 vcc, exec, s[0:1]
	s_cbranch_vccnz .LBB18_1516
; %bb.1515:
	global_load_dword v1, v[12:13], off
.LBB18_1516:
	s_mov_b64 s[0:1], 0
.LBB18_1517:
	s_andn2_b64 vcc, exec, s[0:1]
	s_cbranch_vccnz .LBB18_1519
; %bb.1518:
	global_load_dword v1, v[12:13], off
	s_waitcnt vmcnt(0)
	v_cvt_f32_f16_e32 v1, v1
.LBB18_1519:
	s_mov_b64 s[0:1], 0
.LBB18_1520:
	s_andn2_b64 vcc, exec, s[0:1]
	s_cbranch_vccnz .LBB18_1531
; %bb.1521:
	s_waitcnt vmcnt(0)
	v_mov_b32_e32 v1, 6
	v_cmp_lt_i16_sdwa s[0:1], s17, v1 src0_sel:BYTE_0 src1_sel:DWORD
	s_and_b64 vcc, exec, s[0:1]
	s_cbranch_vccnz .LBB18_1524
; %bb.1522:
	v_cmp_gt_i16_sdwa s[0:1], s17, v1 src0_sel:BYTE_0 src1_sel:DWORD
	s_and_b64 vcc, exec, s[0:1]
	s_cbranch_vccz .LBB18_1525
; %bb.1523:
	global_load_dwordx2 v[16:17], v[12:13], off
	s_mov_b64 s[0:1], 0
	s_waitcnt vmcnt(0)
	v_cvt_f32_f64_e32 v1, v[16:17]
	s_branch .LBB18_1526
.LBB18_1524:
	s_mov_b64 s[0:1], -1
                                        ; implicit-def: $vgpr1
	s_branch .LBB18_1529
.LBB18_1525:
	s_mov_b64 s[0:1], -1
                                        ; implicit-def: $vgpr1
.LBB18_1526:
	s_andn2_b64 vcc, exec, s[0:1]
	s_cbranch_vccnz .LBB18_1528
; %bb.1527:
	global_load_dword v1, v[12:13], off
.LBB18_1528:
	s_mov_b64 s[0:1], 0
.LBB18_1529:
	s_andn2_b64 vcc, exec, s[0:1]
	s_cbranch_vccnz .LBB18_1531
; %bb.1530:
	global_load_ushort v1, v[12:13], off
	s_waitcnt vmcnt(0)
	v_cvt_f32_f16_e32 v1, v1
.LBB18_1531:
	s_mov_b64 s[0:1], 0
.LBB18_1532:
	s_andn2_b64 vcc, exec, s[0:1]
	s_cbranch_vccnz .LBB18_1552
; %bb.1533:
	s_waitcnt vmcnt(0)
	v_mov_b32_e32 v1, 2
	v_cmp_lt_i16_sdwa s[0:1], s17, v1 src0_sel:BYTE_0 src1_sel:DWORD
	s_and_b64 vcc, exec, s[0:1]
	s_cbranch_vccnz .LBB18_1537
; %bb.1534:
	v_mov_b32_e32 v1, 3
	v_cmp_lt_i16_sdwa s[0:1], s17, v1 src0_sel:BYTE_0 src1_sel:DWORD
	s_and_b64 vcc, exec, s[0:1]
	s_cbranch_vccnz .LBB18_1538
; %bb.1535:
	v_cmp_gt_i16_sdwa s[0:1], s17, v1 src0_sel:BYTE_0 src1_sel:DWORD
	s_and_b64 vcc, exec, s[0:1]
	s_cbranch_vccz .LBB18_1539
; %bb.1536:
	global_load_dwordx2 v[16:17], v[12:13], off
	s_mov_b64 s[0:1], 0
	s_waitcnt vmcnt(0)
	v_xor_b32_e32 v3, v16, v17
	v_ffbh_i32_e32 v1, v17
	v_ashrrev_i32_e32 v3, 31, v3
	v_add_u32_e32 v1, -1, v1
	v_add_u32_e32 v3, 32, v3
	v_min_u32_e32 v1, v1, v3
	v_lshlrev_b64 v[16:17], v1, v[16:17]
	v_min_u32_e32 v3, 1, v16
	v_or_b32_e32 v3, v17, v3
	v_cvt_f32_i32_e32 v3, v3
	v_sub_u32_e32 v1, 32, v1
	v_ldexp_f32 v1, v3, v1
	s_branch .LBB18_1540
.LBB18_1537:
	s_mov_b64 s[0:1], -1
                                        ; implicit-def: $vgpr1
	s_branch .LBB18_1546
.LBB18_1538:
	s_mov_b64 s[0:1], -1
                                        ; implicit-def: $vgpr1
	s_branch .LBB18_1543
.LBB18_1539:
	s_mov_b64 s[0:1], -1
                                        ; implicit-def: $vgpr1
.LBB18_1540:
	s_andn2_b64 vcc, exec, s[0:1]
	s_cbranch_vccnz .LBB18_1542
; %bb.1541:
	global_load_dword v1, v[12:13], off
	s_waitcnt vmcnt(0)
	v_cvt_f32_i32_e32 v1, v1
.LBB18_1542:
	s_mov_b64 s[0:1], 0
.LBB18_1543:
	s_andn2_b64 vcc, exec, s[0:1]
	s_cbranch_vccnz .LBB18_1545
; %bb.1544:
	global_load_sshort v1, v[12:13], off
	s_waitcnt vmcnt(0)
	v_cvt_f32_i32_e32 v1, v1
.LBB18_1545:
	s_mov_b64 s[0:1], 0
.LBB18_1546:
	s_andn2_b64 vcc, exec, s[0:1]
	s_cbranch_vccnz .LBB18_1552
; %bb.1547:
	v_mov_b32_e32 v1, 0
	v_cmp_gt_i16_sdwa s[0:1], s17, v1 src0_sel:BYTE_0 src1_sel:DWORD
	s_and_b64 vcc, exec, s[0:1]
	s_cbranch_vccz .LBB18_1549
; %bb.1548:
	global_load_sbyte v1, v[12:13], off
	s_mov_b64 s[0:1], 0
	s_waitcnt vmcnt(0)
	v_cvt_f32_i32_e32 v1, v1
	s_branch .LBB18_1550
.LBB18_1549:
	s_mov_b64 s[0:1], -1
                                        ; implicit-def: $vgpr1
.LBB18_1550:
	s_andn2_b64 vcc, exec, s[0:1]
	s_cbranch_vccnz .LBB18_1552
; %bb.1551:
	global_load_ubyte v1, v[12:13], off
	s_waitcnt vmcnt(0)
	v_cvt_f32_ubyte0_e32 v1, v1
.LBB18_1552:
.LBB18_1553:
	s_mov_b32 s0, 0x41000000
	s_waitcnt vmcnt(0)
	v_cmp_le_f32_e64 s[0:1], |v1|, s0
                                        ; implicit-def: $vgpr12
	s_and_saveexec_b64 s[4:5], s[0:1]
	s_xor_b64 s[0:1], exec, s[4:5]
	s_cbranch_execz .LBB18_1555
; %bb.1554:
	v_fma_f32 v3, |v1|, 0.5, -2.0
	v_mov_b32_e32 v5, 0x24199b15
	v_fmac_f32_e32 v5, 0xa2a2e5b9, v3
	v_mov_b32_e32 v7, 0x22a2e5b9
	v_fmac_f32_e32 v7, v3, v5
	v_add_f32_e32 v7, 0xa58c275c, v7
	v_fma_f32 v5, v3, v7, -v5
	v_add_f32_e32 v5, 0x26f736c5, v5
	v_fma_f32 v7, v3, v5, -v7
	;; [unrolled: 2-line block ×22, first 2 shown]
	v_add_f32_e32 v7, 0xbcc274f8, v7
	s_mov_b32 s4, 0x3fb8aa3b
	v_fma_f32 v5, v3, v7, -v5
	v_mul_f32_e64 v9, |v1|, s4
	v_add_f32_e32 v5, 0x3d49f456, v5
	v_rndne_f32_e32 v11, v9
	v_fma_f32 v7, v3, v5, -v7
	v_sub_f32_e32 v12, v9, v11
	v_fma_f32 v9, |v1|, s4, -v9
	s_mov_b32 s4, 0x32a5705f
	v_add_f32_e32 v7, 0xbdc25b82, v7
	v_fma_f32 v9, |v1|, s4, v9
	v_fma_f32 v5, v3, v7, -v5
	v_add_f32_e32 v9, v12, v9
	v_add_f32_e32 v5, 0x3e2fbd64, v5
	v_exp_f32_e32 v9, v9
	v_cvt_i32_f32_e32 v11, v11
	v_fma_f32 v7, v3, v5, -v7
	v_add_f32_e32 v7, 0xbe9bff5e, v7
	v_fma_f32 v3, v3, v7, -v5
	s_mov_b32 s4, 0xc2ce8ed0
	v_add_f32_e32 v3, 0x3f2d4275, v3
	v_ldexp_f32 v7, v9, v11
	v_cmp_nlt_f32_e64 vcc, |v1|, s4
	s_mov_b32 s4, 0x42b17218
	v_cndmask_b32_e32 v7, 0, v7, vcc
	v_mov_b32_e32 v9, 0x7f800000
	v_cmp_ngt_f32_e64 vcc, |v1|, s4
	v_sub_f32_e32 v3, v3, v5
	v_cndmask_b32_e32 v1, v9, v7, vcc
	v_mul_f32_e32 v3, 0.5, v3
	v_mul_f32_e32 v12, v1, v3
                                        ; implicit-def: $vgpr1
.LBB18_1555:
	s_andn2_saveexec_b64 s[4:5], s[0:1]
	s_cbranch_execz .LBB18_1557
; %bb.1556:
	v_and_b32_e32 v3, 0x7fffffff, v1
	s_mov_b32 s6, 0x42000000
	v_div_scale_f32 v5, s[0:1], v3, v3, s6
	v_rcp_f32_e32 v7, v5
	v_div_scale_f32 v3, vcc, s6, v3, s6
	s_mov_b32 s0, 0x3fb8aa3b
	v_fma_f32 v9, -v5, v7, 1.0
	v_fmac_f32_e32 v7, v9, v7
	v_mul_f32_e32 v9, v3, v7
	v_fma_f32 v11, -v5, v9, v3
	v_fmac_f32_e32 v9, v11, v7
	v_fma_f32 v3, -v5, v9, v3
	v_div_fmas_f32 v3, v3, v7, v9
	v_div_fixup_f32 v3, v3, |v1|, s6
	v_add_f32_e32 v3, -2.0, v3
	v_mov_b32_e32 v5, 0xa2b236d3
	v_fmac_f32_e32 v5, 0xa3056dbb, v3
	v_mov_b32_e32 v7, 0x23056dbb
	v_fmac_f32_e32 v7, v3, v5
	v_add_f32_e32 v7, 0x244df0c1, v7
	v_fma_f32 v5, v3, v7, -v5
	v_add_f32_e32 v5, 0x241f9ee8, v5
	v_fma_f32 v7, v3, v5, -v7
	;; [unrolled: 2-line block ×17, first 2 shown]
	v_add_f32_e32 v5, 0x32c2b494, v5
	v_mul_f32_e64 v9, |v1|, s0
	v_fma_f32 v7, v3, v5, -v7
	v_rndne_f32_e32 v11, v9
	v_add_f32_e32 v7, 0x345c003f, v7
	v_sub_f32_e32 v12, v9, v11
	v_fma_f32 v9, |v1|, s0, -v9
	s_mov_b32 s0, 0x32a5705f
	v_fma_f32 v5, v3, v7, -v5
	v_fma_f32 v9, |v1|, s0, v9
	v_add_f32_e32 v5, 0x3642095e, v5
	v_add_f32_e32 v9, v12, v9
	v_fma_f32 v7, v3, v5, -v7
	v_exp_f32_e32 v9, v9
	v_cvt_i32_f32_e32 v11, v11
	v_add_f32_e32 v7, 0x38907d1c, v7
	v_fma_f32 v5, v3, v7, -v5
	v_add_f32_e32 v5, 0x3b5ccc65, v5
	s_mov_b32 s0, 0xc2ce8ed0
	v_fma_f32 v3, v3, v5, -v7
	v_ldexp_f32 v5, v9, v11
	v_cmp_nlt_f32_e64 vcc, |v1|, s0
	s_mov_b32 s0, 0x42b17218
	v_cndmask_b32_e32 v5, 0, v5, vcc
	v_mov_b32_e32 v9, 0x7f800000
	v_cmp_ngt_f32_e64 vcc, |v1|, s0
	s_mov_b32 s0, 0xf800000
	s_mov_b32 s1, 0x4f800000
	v_cndmask_b32_e32 v5, v9, v5, vcc
	v_mul_f32_e64 v9, |v1|, s1
	v_cmp_lt_f32_e64 vcc, |v1|, s0
	v_cndmask_b32_e64 v1, |v1|, v9, vcc
	v_sqrt_f32_e32 v9, v1
	v_add_f32_e32 v3, 0x3f4df315, v3
	v_sub_f32_e32 v3, v3, v7
	v_mul_f32_e32 v3, 0.5, v3
	v_mul_f32_e32 v3, v5, v3
	v_add_u32_e32 v5, -1, v9
	v_fma_f32 v7, -v5, v9, v1
	v_cmp_ge_f32_e64 s[0:1], 0, v7
	v_add_u32_e32 v7, 1, v9
	v_cndmask_b32_e64 v5, v9, v5, s[0:1]
	v_fma_f32 v9, -v7, v9, v1
	v_cmp_lt_f32_e64 s[0:1], 0, v9
	v_cndmask_b32_e64 v5, v5, v7, s[0:1]
	v_mul_f32_e32 v7, 0x37800000, v5
	v_cndmask_b32_e32 v5, v5, v7, vcc
	v_mov_b32_e32 v7, 0x260
	v_cmp_class_f32_e32 vcc, v1, v7
	v_cndmask_b32_e32 v1, v5, v1, vcc
	v_div_scale_f32 v5, s[0:1], v1, v1, v3
	v_rcp_f32_e32 v7, v5
	v_fma_f32 v9, -v5, v7, 1.0
	v_fmac_f32_e32 v7, v9, v7
	v_div_scale_f32 v9, vcc, v3, v1, v3
	v_mul_f32_e32 v11, v9, v7
	v_fma_f32 v12, -v5, v11, v9
	v_fmac_f32_e32 v11, v12, v7
	v_fma_f32 v5, -v5, v11, v9
	v_div_fmas_f32 v5, v5, v7, v11
	v_div_fixup_f32 v12, v5, v1, v3
.LBB18_1557:
	s_or_b64 exec, exec, s[4:5]
	v_mov_b32_e32 v1, s11
	v_add_co_u32_e32 v14, vcc, s10, v14
	v_addc_co_u32_e32 v15, vcc, 0, v1, vcc
	v_mov_b32_e32 v1, 11
	v_cmp_lt_i16_sdwa s[0:1], s17, v1 src0_sel:BYTE_0 src1_sel:DWORD
	s_and_b64 vcc, exec, s[0:1]
	s_cbranch_vccnz .LBB18_1564
; %bb.1558:
	v_mov_b32_e32 v1, 25
	v_cmp_gt_i16_sdwa s[0:1], s17, v1 src0_sel:BYTE_0 src1_sel:DWORD
	s_mov_b64 s[4:5], 0
	s_and_b64 vcc, exec, s[0:1]
	s_cbranch_vccz .LBB18_1565
; %bb.1559:
	v_mov_b32_e32 v1, 28
	v_cmp_gt_i16_sdwa s[0:1], s17, v1 src0_sel:BYTE_0 src1_sel:DWORD
	s_and_b64 vcc, exec, s[0:1]
	s_cbranch_vccz .LBB18_1566
; %bb.1560:
	v_mov_b32_e32 v1, 43
	v_cmp_gt_i16_sdwa s[0:1], s17, v1 src0_sel:BYTE_0 src1_sel:DWORD
	;; [unrolled: 5-line block ×3, first 2 shown]
	s_and_b64 vcc, exec, s[0:1]
	s_cbranch_vccz .LBB18_1569
; %bb.1562:
	v_mov_b32_e32 v1, 46
	v_cmp_eq_u16_sdwa s[0:1], s17, v1 src0_sel:BYTE_0 src1_sel:DWORD
	s_mov_b64 s[10:11], 0
	s_and_b64 vcc, exec, s[0:1]
	s_cbranch_vccz .LBB18_1570
; %bb.1563:
	global_load_dword v1, v[14:15], off
	s_mov_b64 s[0:1], 0
	s_mov_b64 s[6:7], -1
	s_waitcnt vmcnt(0)
	v_lshlrev_b32_e32 v1, 16, v1
	s_branch .LBB18_1571
.LBB18_1564:
	s_mov_b64 s[0:1], -1
	s_mov_b64 s[6:7], 0
                                        ; implicit-def: $vgpr1
	s_branch .LBB18_1637
.LBB18_1565:
	s_mov_b64 s[10:11], -1
	s_mov_b64 s[6:7], 0
	s_mov_b64 s[0:1], 0
                                        ; implicit-def: $vgpr1
	s_branch .LBB18_1600
.LBB18_1566:
	s_mov_b64 s[10:11], -1
	s_mov_b64 s[6:7], 0
	s_mov_b64 s[0:1], 0
                                        ; implicit-def: $vgpr1
	s_branch .LBB18_1581
.LBB18_1567:
	s_mov_b64 s[10:11], -1
	s_mov_b64 s[6:7], 0
	s_mov_b64 s[0:1], 0
                                        ; implicit-def: $vgpr1
	s_branch .LBB18_1576
.LBB18_1568:
	s_trap 2
	s_or_b64 s[2:3], s[2:3], exec
                                        ; implicit-def: $vgpr1
	s_cbranch_execz .LBB18_1503
	s_branch .LBB18_1504
.LBB18_1569:
	s_mov_b64 s[10:11], -1
	s_mov_b64 s[6:7], 0
	s_mov_b64 s[0:1], 0
                                        ; implicit-def: $vgpr1
	s_branch .LBB18_1571
.LBB18_1570:
	s_mov_b64 s[0:1], -1
                                        ; implicit-def: $vgpr1
	s_mov_b64 s[6:7], 0
.LBB18_1571:
	s_and_b64 vcc, exec, s[10:11]
	s_cbranch_vccz .LBB18_1575
; %bb.1572:
	v_mov_b32_e32 v1, 44
	v_cmp_eq_u16_sdwa s[0:1], s17, v1 src0_sel:BYTE_0 src1_sel:DWORD
	s_and_b64 vcc, exec, s[0:1]
	s_cbranch_vccz .LBB18_1574
; %bb.1573:
	global_load_ubyte v1, v[14:15], off
	s_movk_i32 s6, 0xff
	v_mov_b32_e32 v3, 0x7f800001
	v_mov_b32_e32 v5, 0x400000
	s_mov_b64 s[0:1], 0
	s_waitcnt vmcnt(0)
	v_lshlrev_b32_e32 v7, 23, v1
	v_cmp_ne_u32_e32 vcc, s6, v1
	v_cndmask_b32_e32 v3, v3, v7, vcc
	v_cmp_ne_u32_e32 vcc, 0, v1
	v_cndmask_b32_e32 v1, v5, v3, vcc
	s_mov_b64 s[6:7], -1
	s_branch .LBB18_1575
.LBB18_1574:
	s_mov_b64 s[0:1], -1
                                        ; implicit-def: $vgpr1
.LBB18_1575:
	s_mov_b64 s[10:11], 0
.LBB18_1576:
	s_and_b64 vcc, exec, s[10:11]
	s_cbranch_vccz .LBB18_1580
; %bb.1577:
	v_mov_b32_e32 v1, 29
	v_cmp_eq_u16_sdwa s[0:1], s17, v1 src0_sel:BYTE_0 src1_sel:DWORD
	s_and_b64 vcc, exec, s[0:1]
	s_cbranch_vccz .LBB18_1579
; %bb.1578:
	global_load_dwordx2 v[16:17], v[14:15], off
	s_mov_b64 s[0:1], 0
	s_mov_b64 s[6:7], -1
	s_mov_b64 s[10:11], 0
	s_waitcnt vmcnt(0)
	v_ffbh_u32_e32 v1, v17
	v_min_u32_e32 v1, 32, v1
	v_lshlrev_b64 v[16:17], v1, v[16:17]
	v_min_u32_e32 v3, 1, v16
	v_or_b32_e32 v3, v17, v3
	v_cvt_f32_u32_e32 v3, v3
	v_sub_u32_e32 v1, 32, v1
	v_ldexp_f32 v1, v3, v1
	s_branch .LBB18_1581
.LBB18_1579:
	s_mov_b64 s[0:1], -1
                                        ; implicit-def: $vgpr1
.LBB18_1580:
	s_mov_b64 s[10:11], 0
.LBB18_1581:
	s_and_b64 vcc, exec, s[10:11]
	s_cbranch_vccz .LBB18_1599
; %bb.1582:
	v_mov_b32_e32 v1, 27
	v_cmp_lt_i16_sdwa s[6:7], s17, v1 src0_sel:BYTE_0 src1_sel:DWORD
	s_and_b64 vcc, exec, s[6:7]
	s_cbranch_vccnz .LBB18_1585
; %bb.1583:
	v_cmp_gt_i16_sdwa s[6:7], s17, v1 src0_sel:BYTE_0 src1_sel:DWORD
	s_and_b64 vcc, exec, s[6:7]
	s_cbranch_vccz .LBB18_1586
; %bb.1584:
	global_load_dword v1, v[14:15], off
	s_mov_b64 s[6:7], 0
	s_waitcnt vmcnt(0)
	v_cvt_f32_u32_e32 v1, v1
	s_branch .LBB18_1587
.LBB18_1585:
	s_mov_b64 s[6:7], -1
                                        ; implicit-def: $vgpr1
	s_branch .LBB18_1590
.LBB18_1586:
	s_mov_b64 s[6:7], -1
                                        ; implicit-def: $vgpr1
.LBB18_1587:
	s_andn2_b64 vcc, exec, s[6:7]
	s_cbranch_vccnz .LBB18_1589
; %bb.1588:
	global_load_ushort v1, v[14:15], off
	s_waitcnt vmcnt(0)
	v_cvt_f32_u32_e32 v1, v1
.LBB18_1589:
	s_mov_b64 s[6:7], 0
.LBB18_1590:
	s_andn2_b64 vcc, exec, s[6:7]
	s_cbranch_vccnz .LBB18_1598
; %bb.1591:
	global_load_ubyte v3, v[14:15], off
	s_movk_i32 s6, 0x7f
                                        ; implicit-def: $sgpr14
	s_waitcnt vmcnt(0)
	v_cmp_lt_i16_e32 vcc, s6, v3
	s_mov_b64 s[6:7], 0
	s_and_saveexec_b64 s[10:11], vcc
	s_xor_b64 s[10:11], exec, s[10:11]
	s_cbranch_execz .LBB18_1612
; %bb.1592:
	s_movk_i32 s6, 0x80
	v_cmp_eq_u16_e32 vcc, s6, v3
	s_mov_b64 s[6:7], -1
                                        ; implicit-def: $sgpr14
	s_and_saveexec_b64 s[12:13], vcc
; %bb.1593:
	s_mov_b32 s14, 0x7f800001
	s_xor_b64 s[6:7], exec, -1
; %bb.1594:
	s_or_b64 exec, exec, s[12:13]
	s_and_b64 s[6:7], s[6:7], exec
	s_or_saveexec_b64 s[10:11], s[10:11]
	v_mov_b32_e32 v1, s14
	s_xor_b64 exec, exec, s[10:11]
	s_cbranch_execnz .LBB18_1613
.LBB18_1595:
	s_or_b64 exec, exec, s[10:11]
	s_and_saveexec_b64 s[10:11], s[6:7]
	s_cbranch_execz .LBB18_1597
.LBB18_1596:
	v_lshlrev_b32_e32 v1, 24, v3
	v_and_b32_e32 v3, 0xffff, v3
	v_and_b32_e32 v5, 7, v3
	v_ffbh_u32_e32 v9, v5
	v_min_u32_e32 v9, 32, v9
	v_subrev_u32_e32 v11, 28, v9
	v_bfe_u32 v7, v3, 3, 4
	v_lshlrev_b32_e32 v3, v11, v3
	v_sub_u32_e32 v9, 29, v9
	v_and_b32_e32 v3, 7, v3
	v_cmp_eq_u32_e32 vcc, 0, v7
	v_cndmask_b32_e32 v7, v7, v9, vcc
	v_cndmask_b32_e32 v3, v5, v3, vcc
	v_mov_b32_e32 v5, 0x3b800000
	v_lshlrev_b32_e32 v3, 20, v3
	v_and_b32_e32 v1, 0x80000000, v1
	v_lshl_add_u32 v5, v7, 23, v5
	v_or3_b32 v1, v1, v5, v3
.LBB18_1597:
	s_or_b64 exec, exec, s[10:11]
.LBB18_1598:
	s_mov_b64 s[6:7], -1
.LBB18_1599:
	s_mov_b64 s[10:11], 0
.LBB18_1600:
	s_and_b64 vcc, exec, s[10:11]
	s_cbranch_vccz .LBB18_1633
; %bb.1601:
	v_mov_b32_e32 v1, 22
	v_cmp_gt_i16_sdwa s[4:5], s17, v1 src0_sel:BYTE_0 src1_sel:DWORD
	s_and_b64 vcc, exec, s[4:5]
	s_cbranch_vccz .LBB18_1611
; %bb.1602:
	v_mov_b32_e32 v1, 24
	v_cmp_lt_i16_sdwa s[4:5], s17, v1 src0_sel:BYTE_0 src1_sel:DWORD
	s_and_b64 vcc, exec, s[4:5]
	s_cbranch_vccnz .LBB18_1614
; %bb.1603:
	v_cmp_gt_i16_sdwa s[4:5], s17, v1 src0_sel:BYTE_0 src1_sel:DWORD
	s_and_b64 vcc, exec, s[4:5]
	s_cbranch_vccz .LBB18_1615
; %bb.1604:
	global_load_ubyte v3, v[14:15], off
	s_movk_i32 s4, 0x7f
                                        ; implicit-def: $sgpr12
	s_waitcnt vmcnt(0)
	v_cmp_lt_i16_e32 vcc, s4, v3
	s_mov_b64 s[4:5], 0
	s_and_saveexec_b64 s[6:7], vcc
	s_xor_b64 s[6:7], exec, s[6:7]
	s_cbranch_execz .LBB18_1627
; %bb.1605:
	s_movk_i32 s4, 0x80
	v_cmp_eq_u16_e32 vcc, s4, v3
	s_mov_b64 s[4:5], -1
                                        ; implicit-def: $sgpr12
	s_and_saveexec_b64 s[10:11], vcc
; %bb.1606:
	s_mov_b32 s12, 0x7f800001
	s_xor_b64 s[4:5], exec, -1
; %bb.1607:
	s_or_b64 exec, exec, s[10:11]
	s_and_b64 s[4:5], s[4:5], exec
	s_or_saveexec_b64 s[6:7], s[6:7]
	v_mov_b32_e32 v1, s12
	s_xor_b64 exec, exec, s[6:7]
	s_cbranch_execnz .LBB18_1628
.LBB18_1608:
	s_or_b64 exec, exec, s[6:7]
	s_and_saveexec_b64 s[6:7], s[4:5]
	s_cbranch_execz .LBB18_1610
.LBB18_1609:
	v_lshlrev_b32_e32 v1, 24, v3
	v_and_b32_e32 v3, 0xffff, v3
	v_and_b32_e32 v5, 3, v3
	v_ffbh_u32_e32 v9, v5
	v_min_u32_e32 v9, 32, v9
	v_subrev_u32_e32 v11, 29, v9
	v_bfe_u32 v7, v3, 2, 5
	v_lshlrev_b32_e32 v3, v11, v3
	v_sub_u32_e32 v9, 30, v9
	v_and_b32_e32 v3, 3, v3
	v_cmp_eq_u32_e32 vcc, 0, v7
	v_cndmask_b32_e32 v7, v7, v9, vcc
	v_cndmask_b32_e32 v3, v5, v3, vcc
	v_mov_b32_e32 v5, 0x37800000
	v_lshlrev_b32_e32 v3, 21, v3
	v_and_b32_e32 v1, 0x80000000, v1
	v_lshl_add_u32 v5, v7, 23, v5
	v_or3_b32 v1, v1, v5, v3
.LBB18_1610:
	s_or_b64 exec, exec, s[6:7]
	s_mov_b64 s[4:5], 0
	s_branch .LBB18_1616
.LBB18_1611:
	s_mov_b64 s[4:5], -1
                                        ; implicit-def: $vgpr1
	s_branch .LBB18_1622
.LBB18_1612:
	s_or_saveexec_b64 s[10:11], s[10:11]
	v_mov_b32_e32 v1, s14
	s_xor_b64 exec, exec, s[10:11]
	s_cbranch_execz .LBB18_1595
.LBB18_1613:
	v_cmp_ne_u16_e32 vcc, 0, v3
	s_andn2_b64 s[6:7], s[6:7], exec
	s_and_b64 s[12:13], vcc, exec
	v_mov_b32_e32 v1, 0
	s_or_b64 s[6:7], s[6:7], s[12:13]
	s_or_b64 exec, exec, s[10:11]
	s_and_saveexec_b64 s[10:11], s[6:7]
	s_cbranch_execnz .LBB18_1596
	s_branch .LBB18_1597
.LBB18_1614:
	s_mov_b64 s[4:5], -1
                                        ; implicit-def: $vgpr1
	s_branch .LBB18_1619
.LBB18_1615:
	s_mov_b64 s[4:5], -1
                                        ; implicit-def: $vgpr1
.LBB18_1616:
	s_and_b64 vcc, exec, s[4:5]
	s_cbranch_vccz .LBB18_1618
; %bb.1617:
	global_load_ubyte v1, v[14:15], off
	s_mov_b32 s4, 0x7f800000
	s_waitcnt vmcnt(0)
	v_lshlrev_b32_e32 v1, 24, v1
	v_and_b32_e32 v3, 0x7f000000, v1
	v_ffbh_u32_e32 v5, v3
	v_min_u32_e32 v5, 32, v5
	v_sub_u32_e64 v5, v5, 4 clamp
	v_lshlrev_b32_e32 v9, v5, v3
	v_lshlrev_b32_e32 v5, 23, v5
	v_lshrrev_b32_e32 v9, 4, v9
	v_add_u32_e32 v7, 0x1000000, v3
	v_sub_u32_e32 v5, v9, v5
	v_ashrrev_i32_e32 v7, 8, v7
	v_add_u32_e32 v5, 0x3c000000, v5
	v_and_or_b32 v5, v7, s4, v5
	v_cmp_ne_u32_e32 vcc, 0, v3
	v_cndmask_b32_e32 v3, 0, v5, vcc
	s_brev_b32 s4, 1
	v_and_or_b32 v1, v1, s4, v3
.LBB18_1618:
	s_mov_b64 s[4:5], 0
.LBB18_1619:
	s_andn2_b64 vcc, exec, s[4:5]
	s_cbranch_vccnz .LBB18_1621
; %bb.1620:
	global_load_ubyte v1, v[14:15], off
	s_movk_i32 s4, 0x7f00
	s_brev_b32 s5, 16
	s_waitcnt vmcnt(0)
	v_lshlrev_b16_e32 v3, 8, v1
	v_lshlrev_b32_e32 v1, 25, v1
	v_lshrrev_b32_e32 v5, 4, v1
	v_and_or_b32 v7, v3, s4, 0.5
	v_or_b32_e32 v5, 0x70000000, v5
	v_add_f32_e32 v7, -0.5, v7
	v_mul_f32_e32 v5, 0x7800000, v5
	v_cmp_gt_u32_e32 vcc, s5, v1
	v_bfe_i32 v3, v3, 0, 16
	v_cndmask_b32_e32 v1, v5, v7, vcc
	s_brev_b32 s4, 1
	v_and_or_b32 v1, v3, s4, v1
.LBB18_1621:
	s_mov_b64 s[4:5], 0
	s_mov_b64 s[6:7], -1
.LBB18_1622:
	s_andn2_b64 vcc, exec, s[4:5]
	s_mov_b64 s[4:5], 0
	s_cbranch_vccnz .LBB18_1633
; %bb.1623:
	v_mov_b32_e32 v1, 14
	v_cmp_gt_i16_sdwa s[4:5], s17, v1 src0_sel:BYTE_0 src1_sel:DWORD
	s_and_b64 vcc, exec, s[4:5]
	s_cbranch_vccz .LBB18_1626
; %bb.1624:
	v_mov_b32_e32 v1, 15
	v_cmp_eq_u16_sdwa s[0:1], s17, v1 src0_sel:BYTE_0 src1_sel:DWORD
	s_and_b64 vcc, exec, s[0:1]
	s_cbranch_vccz .LBB18_1629
; %bb.1625:
	global_load_ushort v1, v[14:15], off
	s_mov_b64 s[0:1], 0
	s_mov_b64 s[6:7], -1
	s_waitcnt vmcnt(0)
	v_lshlrev_b32_e32 v1, 16, v1
	s_branch .LBB18_1630
.LBB18_1626:
	s_mov_b64 s[10:11], -1
                                        ; implicit-def: $vgpr1
	s_branch .LBB18_1631
.LBB18_1627:
	s_or_saveexec_b64 s[6:7], s[6:7]
	v_mov_b32_e32 v1, s12
	s_xor_b64 exec, exec, s[6:7]
	s_cbranch_execz .LBB18_1608
.LBB18_1628:
	v_cmp_ne_u16_e32 vcc, 0, v3
	s_andn2_b64 s[4:5], s[4:5], exec
	s_and_b64 s[10:11], vcc, exec
	v_mov_b32_e32 v1, 0
	s_or_b64 s[4:5], s[4:5], s[10:11]
	s_or_b64 exec, exec, s[6:7]
	s_and_saveexec_b64 s[6:7], s[4:5]
	s_cbranch_execnz .LBB18_1609
	s_branch .LBB18_1610
.LBB18_1629:
	s_mov_b64 s[0:1], -1
                                        ; implicit-def: $vgpr1
.LBB18_1630:
	s_mov_b64 s[10:11], 0
.LBB18_1631:
	s_mov_b64 s[4:5], 0
	s_and_b64 vcc, exec, s[10:11]
	s_cbranch_vccz .LBB18_1633
; %bb.1632:
	v_mov_b32_e32 v1, 11
	v_cmp_ne_u16_sdwa s[0:1], s17, v1 src0_sel:BYTE_0 src1_sel:DWORD
	s_mov_b64 s[4:5], -1
                                        ; implicit-def: $vgpr1
.LBB18_1633:
	s_and_b64 vcc, exec, s[0:1]
	s_cbranch_vccnz .LBB18_1747
; %bb.1634:
	s_andn2_b64 vcc, exec, s[4:5]
	s_cbranch_vccnz .LBB18_1636
.LBB18_1635:
	global_load_ubyte v1, v[14:15], off
	s_mov_b64 s[6:7], -1
	s_waitcnt vmcnt(0)
	v_cmp_ne_u16_e32 vcc, 0, v1
	v_cndmask_b32_e64 v1, 0, 1.0, vcc
.LBB18_1636:
	s_mov_b64 s[0:1], 0
.LBB18_1637:
	s_and_b64 vcc, exec, s[0:1]
	s_cbranch_vccz .LBB18_1686
; %bb.1638:
	v_mov_b32_e32 v1, 5
	v_cmp_lt_i16_sdwa s[0:1], s17, v1 src0_sel:BYTE_0 src1_sel:DWORD
	s_and_b64 vcc, exec, s[0:1]
	s_cbranch_vccnz .LBB18_1643
; %bb.1639:
	v_mov_b32_e32 v1, 8
	v_cmp_lt_i16_sdwa s[0:1], s17, v1 src0_sel:BYTE_0 src1_sel:DWORD
	s_and_b64 vcc, exec, s[0:1]
	s_cbranch_vccnz .LBB18_1644
	;; [unrolled: 5-line block ×3, first 2 shown]
; %bb.1641:
	v_cmp_gt_i16_sdwa s[0:1], s17, v1 src0_sel:BYTE_0 src1_sel:DWORD
	s_and_b64 vcc, exec, s[0:1]
	s_cbranch_vccz .LBB18_1646
; %bb.1642:
	global_load_dwordx2 v[16:17], v[14:15], off
	s_mov_b64 s[0:1], 0
	s_waitcnt vmcnt(0)
	v_cvt_f32_f64_e32 v1, v[16:17]
	s_branch .LBB18_1647
.LBB18_1643:
	s_mov_b64 s[0:1], -1
                                        ; implicit-def: $vgpr1
	s_branch .LBB18_1665
.LBB18_1644:
	s_mov_b64 s[0:1], -1
                                        ; implicit-def: $vgpr1
	s_branch .LBB18_1653
.LBB18_1645:
	s_mov_b64 s[0:1], -1
                                        ; implicit-def: $vgpr1
	s_branch .LBB18_1650
.LBB18_1646:
	s_mov_b64 s[0:1], -1
                                        ; implicit-def: $vgpr1
.LBB18_1647:
	s_andn2_b64 vcc, exec, s[0:1]
	s_cbranch_vccnz .LBB18_1649
; %bb.1648:
	global_load_dword v1, v[14:15], off
.LBB18_1649:
	s_mov_b64 s[0:1], 0
.LBB18_1650:
	s_andn2_b64 vcc, exec, s[0:1]
	s_cbranch_vccnz .LBB18_1652
; %bb.1651:
	global_load_dword v1, v[14:15], off
	s_waitcnt vmcnt(0)
	v_cvt_f32_f16_e32 v1, v1
.LBB18_1652:
	s_mov_b64 s[0:1], 0
.LBB18_1653:
	s_andn2_b64 vcc, exec, s[0:1]
	s_cbranch_vccnz .LBB18_1664
; %bb.1654:
	s_waitcnt vmcnt(0)
	v_mov_b32_e32 v1, 6
	v_cmp_lt_i16_sdwa s[0:1], s17, v1 src0_sel:BYTE_0 src1_sel:DWORD
	s_and_b64 vcc, exec, s[0:1]
	s_cbranch_vccnz .LBB18_1657
; %bb.1655:
	v_cmp_gt_i16_sdwa s[0:1], s17, v1 src0_sel:BYTE_0 src1_sel:DWORD
	s_and_b64 vcc, exec, s[0:1]
	s_cbranch_vccz .LBB18_1658
; %bb.1656:
	global_load_dwordx2 v[16:17], v[14:15], off
	s_mov_b64 s[0:1], 0
	s_waitcnt vmcnt(0)
	v_cvt_f32_f64_e32 v1, v[16:17]
	s_branch .LBB18_1659
.LBB18_1657:
	s_mov_b64 s[0:1], -1
                                        ; implicit-def: $vgpr1
	s_branch .LBB18_1662
.LBB18_1658:
	s_mov_b64 s[0:1], -1
                                        ; implicit-def: $vgpr1
.LBB18_1659:
	s_andn2_b64 vcc, exec, s[0:1]
	s_cbranch_vccnz .LBB18_1661
; %bb.1660:
	global_load_dword v1, v[14:15], off
.LBB18_1661:
	s_mov_b64 s[0:1], 0
.LBB18_1662:
	s_andn2_b64 vcc, exec, s[0:1]
	s_cbranch_vccnz .LBB18_1664
; %bb.1663:
	global_load_ushort v1, v[14:15], off
	s_waitcnt vmcnt(0)
	v_cvt_f32_f16_e32 v1, v1
.LBB18_1664:
	s_mov_b64 s[0:1], 0
.LBB18_1665:
	s_andn2_b64 vcc, exec, s[0:1]
	s_cbranch_vccnz .LBB18_1685
; %bb.1666:
	s_waitcnt vmcnt(0)
	v_mov_b32_e32 v1, 2
	v_cmp_lt_i16_sdwa s[0:1], s17, v1 src0_sel:BYTE_0 src1_sel:DWORD
	s_and_b64 vcc, exec, s[0:1]
	s_cbranch_vccnz .LBB18_1670
; %bb.1667:
	v_mov_b32_e32 v1, 3
	v_cmp_lt_i16_sdwa s[0:1], s17, v1 src0_sel:BYTE_0 src1_sel:DWORD
	s_and_b64 vcc, exec, s[0:1]
	s_cbranch_vccnz .LBB18_1671
; %bb.1668:
	v_cmp_gt_i16_sdwa s[0:1], s17, v1 src0_sel:BYTE_0 src1_sel:DWORD
	s_and_b64 vcc, exec, s[0:1]
	s_cbranch_vccz .LBB18_1672
; %bb.1669:
	global_load_dwordx2 v[16:17], v[14:15], off
	s_mov_b64 s[0:1], 0
	s_waitcnt vmcnt(0)
	v_xor_b32_e32 v3, v16, v17
	v_ffbh_i32_e32 v1, v17
	v_ashrrev_i32_e32 v3, 31, v3
	v_add_u32_e32 v1, -1, v1
	v_add_u32_e32 v3, 32, v3
	v_min_u32_e32 v1, v1, v3
	v_lshlrev_b64 v[16:17], v1, v[16:17]
	v_min_u32_e32 v3, 1, v16
	v_or_b32_e32 v3, v17, v3
	v_cvt_f32_i32_e32 v3, v3
	v_sub_u32_e32 v1, 32, v1
	v_ldexp_f32 v1, v3, v1
	s_branch .LBB18_1673
.LBB18_1670:
	s_mov_b64 s[0:1], -1
                                        ; implicit-def: $vgpr1
	s_branch .LBB18_1679
.LBB18_1671:
	s_mov_b64 s[0:1], -1
                                        ; implicit-def: $vgpr1
	s_branch .LBB18_1676
.LBB18_1672:
	s_mov_b64 s[0:1], -1
                                        ; implicit-def: $vgpr1
.LBB18_1673:
	s_andn2_b64 vcc, exec, s[0:1]
	s_cbranch_vccnz .LBB18_1675
; %bb.1674:
	global_load_dword v1, v[14:15], off
	s_waitcnt vmcnt(0)
	v_cvt_f32_i32_e32 v1, v1
.LBB18_1675:
	s_mov_b64 s[0:1], 0
.LBB18_1676:
	s_andn2_b64 vcc, exec, s[0:1]
	s_cbranch_vccnz .LBB18_1678
; %bb.1677:
	global_load_sshort v1, v[14:15], off
	s_waitcnt vmcnt(0)
	v_cvt_f32_i32_e32 v1, v1
.LBB18_1678:
	s_mov_b64 s[0:1], 0
.LBB18_1679:
	s_andn2_b64 vcc, exec, s[0:1]
	s_cbranch_vccnz .LBB18_1685
; %bb.1680:
	v_mov_b32_e32 v1, 0
	v_cmp_gt_i16_sdwa s[0:1], s17, v1 src0_sel:BYTE_0 src1_sel:DWORD
	s_and_b64 vcc, exec, s[0:1]
	s_cbranch_vccz .LBB18_1682
; %bb.1681:
	global_load_sbyte v1, v[14:15], off
	s_mov_b64 s[0:1], 0
	s_waitcnt vmcnt(0)
	v_cvt_f32_i32_e32 v1, v1
	s_branch .LBB18_1683
.LBB18_1682:
	s_mov_b64 s[0:1], -1
                                        ; implicit-def: $vgpr1
.LBB18_1683:
	s_andn2_b64 vcc, exec, s[0:1]
	s_cbranch_vccnz .LBB18_1685
; %bb.1684:
	global_load_ubyte v1, v[14:15], off
	s_waitcnt vmcnt(0)
	v_cvt_f32_ubyte0_e32 v1, v1
.LBB18_1685:
	s_mov_b64 s[6:7], -1
.LBB18_1686:
	s_andn2_b64 vcc, exec, s[6:7]
	s_cbranch_vccnz .LBB18_1698
; %bb.1687:
	s_mov_b32 s0, 0x41000000
	s_waitcnt vmcnt(0)
	v_cmp_le_f32_e64 s[0:1], |v1|, s0
                                        ; implicit-def: $vgpr14
	s_and_saveexec_b64 s[4:5], s[0:1]
	s_xor_b64 s[0:1], exec, s[4:5]
	s_cbranch_execz .LBB18_1689
; %bb.1688:
	v_fma_f32 v3, |v1|, 0.5, -2.0
	v_mov_b32_e32 v5, 0x24199b15
	v_fmac_f32_e32 v5, 0xa2a2e5b9, v3
	v_mov_b32_e32 v7, 0x22a2e5b9
	v_fmac_f32_e32 v7, v3, v5
	v_add_f32_e32 v7, 0xa58c275c, v7
	v_fma_f32 v5, v3, v7, -v5
	v_add_f32_e32 v5, 0x26f736c5, v5
	v_fma_f32 v7, v3, v5, -v7
	;; [unrolled: 2-line block ×22, first 2 shown]
	v_add_f32_e32 v7, 0xbcc274f8, v7
	s_mov_b32 s4, 0x3fb8aa3b
	v_fma_f32 v5, v3, v7, -v5
	v_mul_f32_e64 v9, |v1|, s4
	v_add_f32_e32 v5, 0x3d49f456, v5
	v_rndne_f32_e32 v11, v9
	v_fma_f32 v7, v3, v5, -v7
	v_sub_f32_e32 v13, v9, v11
	v_fma_f32 v9, |v1|, s4, -v9
	s_mov_b32 s4, 0x32a5705f
	v_add_f32_e32 v7, 0xbdc25b82, v7
	v_fma_f32 v9, |v1|, s4, v9
	v_fma_f32 v5, v3, v7, -v5
	v_add_f32_e32 v9, v13, v9
	v_add_f32_e32 v5, 0x3e2fbd64, v5
	v_exp_f32_e32 v9, v9
	v_cvt_i32_f32_e32 v11, v11
	v_fma_f32 v7, v3, v5, -v7
	v_add_f32_e32 v7, 0xbe9bff5e, v7
	v_fma_f32 v3, v3, v7, -v5
	s_mov_b32 s4, 0xc2ce8ed0
	v_add_f32_e32 v3, 0x3f2d4275, v3
	v_ldexp_f32 v7, v9, v11
	v_cmp_nlt_f32_e64 vcc, |v1|, s4
	s_mov_b32 s4, 0x42b17218
	v_cndmask_b32_e32 v7, 0, v7, vcc
	v_mov_b32_e32 v9, 0x7f800000
	v_cmp_ngt_f32_e64 vcc, |v1|, s4
	v_sub_f32_e32 v3, v3, v5
	v_cndmask_b32_e32 v1, v9, v7, vcc
	v_mul_f32_e32 v3, 0.5, v3
	v_mul_f32_e32 v14, v1, v3
                                        ; implicit-def: $vgpr1
.LBB18_1689:
	s_andn2_saveexec_b64 s[4:5], s[0:1]
	s_cbranch_execz .LBB18_1691
; %bb.1690:
	v_and_b32_e32 v3, 0x7fffffff, v1
	s_mov_b32 s6, 0x42000000
	v_div_scale_f32 v5, s[0:1], v3, v3, s6
	v_rcp_f32_e32 v7, v5
	v_div_scale_f32 v3, vcc, s6, v3, s6
	s_mov_b32 s0, 0x3fb8aa3b
	v_fma_f32 v9, -v5, v7, 1.0
	v_fmac_f32_e32 v7, v9, v7
	v_mul_f32_e32 v9, v3, v7
	v_fma_f32 v11, -v5, v9, v3
	v_fmac_f32_e32 v9, v11, v7
	v_fma_f32 v3, -v5, v9, v3
	v_div_fmas_f32 v3, v3, v7, v9
	v_div_fixup_f32 v3, v3, |v1|, s6
	v_add_f32_e32 v3, -2.0, v3
	v_mov_b32_e32 v5, 0xa2b236d3
	v_fmac_f32_e32 v5, 0xa3056dbb, v3
	v_mov_b32_e32 v7, 0x23056dbb
	v_fmac_f32_e32 v7, v3, v5
	v_add_f32_e32 v7, 0x244df0c1, v7
	v_fma_f32 v5, v3, v7, -v5
	v_add_f32_e32 v5, 0x241f9ee8, v5
	v_fma_f32 v7, v3, v5, -v7
	;; [unrolled: 2-line block ×17, first 2 shown]
	v_add_f32_e32 v5, 0x32c2b494, v5
	v_mul_f32_e64 v9, |v1|, s0
	v_fma_f32 v7, v3, v5, -v7
	v_rndne_f32_e32 v11, v9
	v_add_f32_e32 v7, 0x345c003f, v7
	v_sub_f32_e32 v13, v9, v11
	v_fma_f32 v9, |v1|, s0, -v9
	s_mov_b32 s0, 0x32a5705f
	v_fma_f32 v5, v3, v7, -v5
	v_fma_f32 v9, |v1|, s0, v9
	v_add_f32_e32 v5, 0x3642095e, v5
	v_add_f32_e32 v9, v13, v9
	v_fma_f32 v7, v3, v5, -v7
	v_exp_f32_e32 v9, v9
	v_cvt_i32_f32_e32 v11, v11
	v_add_f32_e32 v7, 0x38907d1c, v7
	v_fma_f32 v5, v3, v7, -v5
	v_add_f32_e32 v5, 0x3b5ccc65, v5
	s_mov_b32 s0, 0xc2ce8ed0
	v_fma_f32 v3, v3, v5, -v7
	v_ldexp_f32 v5, v9, v11
	v_cmp_nlt_f32_e64 vcc, |v1|, s0
	s_mov_b32 s0, 0x42b17218
	v_cndmask_b32_e32 v5, 0, v5, vcc
	v_mov_b32_e32 v9, 0x7f800000
	v_cmp_ngt_f32_e64 vcc, |v1|, s0
	s_mov_b32 s0, 0xf800000
	s_mov_b32 s1, 0x4f800000
	v_cndmask_b32_e32 v5, v9, v5, vcc
	v_mul_f32_e64 v9, |v1|, s1
	v_cmp_lt_f32_e64 vcc, |v1|, s0
	v_cndmask_b32_e64 v1, |v1|, v9, vcc
	v_sqrt_f32_e32 v9, v1
	v_add_f32_e32 v3, 0x3f4df315, v3
	v_sub_f32_e32 v3, v3, v7
	v_mul_f32_e32 v3, 0.5, v3
	v_mul_f32_e32 v3, v5, v3
	v_add_u32_e32 v5, -1, v9
	v_fma_f32 v7, -v5, v9, v1
	v_cmp_ge_f32_e64 s[0:1], 0, v7
	v_add_u32_e32 v7, 1, v9
	v_cndmask_b32_e64 v5, v9, v5, s[0:1]
	v_fma_f32 v9, -v7, v9, v1
	v_cmp_lt_f32_e64 s[0:1], 0, v9
	v_cndmask_b32_e64 v5, v5, v7, s[0:1]
	v_mul_f32_e32 v7, 0x37800000, v5
	v_cndmask_b32_e32 v5, v5, v7, vcc
	v_mov_b32_e32 v7, 0x260
	v_cmp_class_f32_e32 vcc, v1, v7
	v_cndmask_b32_e32 v1, v5, v1, vcc
	v_div_scale_f32 v5, s[0:1], v1, v1, v3
	v_rcp_f32_e32 v7, v5
	v_fma_f32 v9, -v5, v7, 1.0
	v_fmac_f32_e32 v7, v9, v7
	v_div_scale_f32 v9, vcc, v3, v1, v3
	v_mul_f32_e32 v11, v9, v7
	v_fma_f32 v13, -v5, v11, v9
	v_fmac_f32_e32 v11, v13, v7
	v_fma_f32 v5, -v5, v11, v9
	v_div_fmas_f32 v5, v5, v7, v11
	v_div_fixup_f32 v14, v5, v1, v3
.LBB18_1691:
	s_or_b64 exec, exec, s[4:5]
	v_mov_b32_e32 v1, s9
	v_add_co_u32_e32 v6, vcc, s8, v6
	s_lshr_b32 s14, s16, 8
	v_addc_co_u32_e32 v7, vcc, 0, v1, vcc
	v_mov_b32_e32 v1, 11
	v_cmp_lt_i16_sdwa s[0:1], s14, v1 src0_sel:BYTE_0 src1_sel:DWORD
	s_and_b64 vcc, exec, s[0:1]
	s_cbranch_vccnz .LBB18_1744
; %bb.1692:
	v_mov_b32_e32 v1, 25
	v_cmp_gt_i16_sdwa s[0:1], s14, v1 src0_sel:BYTE_0 src1_sel:DWORD
	s_mov_b64 s[10:11], -1
	s_mov_b64 s[4:5], 0
	s_and_b64 vcc, exec, s[0:1]
	s_mov_b64 s[6:7], 0
	s_mov_b64 s[0:1], 0
	s_cbranch_vccz .LBB18_1776
; %bb.1693:
	v_mov_b32_e32 v1, 28
	v_cmp_gt_i16_sdwa s[0:1], s14, v1 src0_sel:BYTE_0 src1_sel:DWORD
	s_and_b64 vcc, exec, s[0:1]
	s_cbranch_vccz .LBB18_1745
; %bb.1694:
	v_mov_b32_e32 v1, 43
	v_cmp_gt_i16_sdwa s[0:1], s14, v1 src0_sel:BYTE_0 src1_sel:DWORD
	s_and_b64 vcc, exec, s[0:1]
	;; [unrolled: 5-line block ×3, first 2 shown]
	s_cbranch_vccz .LBB18_1748
; %bb.1696:
	v_mov_b32_e32 v1, 46
	v_cmp_eq_u16_sdwa s[6:7], s14, v1 src0_sel:BYTE_0 src1_sel:DWORD
	s_mov_b64 s[0:1], -1
	s_mov_b64 s[10:11], 0
	s_and_b64 vcc, exec, s[6:7]
	s_mov_b64 s[6:7], 0
	s_cbranch_vccz .LBB18_1749
; %bb.1697:
	v_bfe_u32 v1, v8, 16, 1
	s_movk_i32 s0, 0x7fff
	v_add3_u32 v1, v8, v1, s0
	v_lshrrev_b32_e32 v1, 16, v1
	v_mov_b32_e32 v3, 0x7fc0
	v_cmp_o_f32_e32 vcc, v8, v8
	v_cndmask_b32_e32 v1, v3, v1, vcc
	global_store_dword v[6:7], v1, off
	s_mov_b64 s[0:1], 0
	s_mov_b64 s[6:7], -1
	s_branch .LBB18_1749
.LBB18_1698:
	s_mov_b64 s[0:1], 0
                                        ; implicit-def: $vgpr0_vgpr1
                                        ; implicit-def: $vgpr2
                                        ; implicit-def: $vgpr14
.LBB18_1699:
	s_mov_b64 s[4:5], 0
.LBB18_1700:
	s_and_b64 s[6:7], s[4:5], exec
	s_andn2_b64 s[4:5], s[28:29], exec
	s_and_b64 s[2:3], s[2:3], exec
	s_and_b64 s[0:1], s[0:1], exec
	s_or_b64 s[28:29], s[4:5], s[2:3]
.LBB18_1701:
	s_or_b64 exec, exec, s[30:31]
	s_and_saveexec_b64 s[2:3], s[28:29]
	s_cbranch_execz .LBB18_1704
; %bb.1702:
	; divergent unreachable
	s_or_b64 exec, exec, s[2:3]
	s_and_saveexec_b64 s[2:3], s[6:7]
	s_xor_b64 s[2:3], exec, s[2:3]
	s_cbranch_execnz .LBB18_1705
.LBB18_1703:
	s_or_b64 exec, exec, s[2:3]
	s_and_saveexec_b64 s[2:3], s[0:1]
	s_cbranch_execnz .LBB18_1706
	s_branch .LBB18_1743
.LBB18_1704:
	s_or_b64 exec, exec, s[2:3]
	s_and_saveexec_b64 s[2:3], s[6:7]
	s_xor_b64 s[2:3], exec, s[2:3]
	s_cbranch_execz .LBB18_1703
.LBB18_1705:
	v_cmp_neq_f32_e32 vcc, 0, v14
	v_cndmask_b32_e64 v3, 0, 1, vcc
	s_waitcnt vmcnt(0)
	global_store_byte v[0:1], v3, off
	s_or_b64 exec, exec, s[2:3]
	s_and_saveexec_b64 s[2:3], s[0:1]
	s_cbranch_execz .LBB18_1743
.LBB18_1706:
	v_cmp_gt_i16_e32 vcc, 5, v2
	s_mov_b64 s[0:1], -1
	s_cbranch_vccnz .LBB18_1727
; %bb.1707:
	v_cmp_gt_i16_e32 vcc, 8, v2
	s_cbranch_vccnz .LBB18_1717
; %bb.1708:
	v_cmp_gt_i16_e32 vcc, 9, v2
	s_cbranch_vccnz .LBB18_1714
; %bb.1709:
	v_cmp_lt_i16_e32 vcc, 9, v2
	s_cbranch_vccz .LBB18_1711
; %bb.1710:
	v_mov_b32_e32 v6, 0
	v_cvt_f64_f32_e32 v[4:5], v14
	s_waitcnt vmcnt(0)
	v_mov_b32_e32 v7, v6
	global_store_dwordx4 v[0:1], v[4:7], off
	s_mov_b64 s[0:1], 0
.LBB18_1711:
	s_andn2_b64 vcc, exec, s[0:1]
	s_cbranch_vccnz .LBB18_1713
; %bb.1712:
	v_mov_b32_e32 v15, 0
	s_waitcnt vmcnt(0)
	global_store_dwordx2 v[0:1], v[14:15], off
.LBB18_1713:
	s_mov_b64 s[0:1], 0
.LBB18_1714:
	s_andn2_b64 vcc, exec, s[0:1]
	s_cbranch_vccnz .LBB18_1716
; %bb.1715:
	v_cvt_f16_f32_e32 v3, v14
	s_waitcnt vmcnt(0)
	global_store_dword v[0:1], v3, off
.LBB18_1716:
	s_mov_b64 s[0:1], 0
.LBB18_1717:
	s_andn2_b64 vcc, exec, s[0:1]
	s_cbranch_vccnz .LBB18_1726
; %bb.1718:
	v_cmp_gt_i16_e32 vcc, 6, v2
	s_mov_b64 s[0:1], -1
	s_cbranch_vccnz .LBB18_1724
; %bb.1719:
	v_cmp_lt_i16_e32 vcc, 6, v2
	s_cbranch_vccz .LBB18_1721
; %bb.1720:
	v_cvt_f64_f32_e32 v[4:5], v14
	s_waitcnt vmcnt(0)
	global_store_dwordx2 v[0:1], v[4:5], off
	s_mov_b64 s[0:1], 0
.LBB18_1721:
	s_andn2_b64 vcc, exec, s[0:1]
	s_cbranch_vccnz .LBB18_1723
; %bb.1722:
	s_waitcnt vmcnt(0)
	global_store_dword v[0:1], v14, off
.LBB18_1723:
	s_mov_b64 s[0:1], 0
.LBB18_1724:
	s_andn2_b64 vcc, exec, s[0:1]
	s_cbranch_vccnz .LBB18_1726
; %bb.1725:
	v_cvt_f16_f32_e32 v3, v14
	s_waitcnt vmcnt(0)
	global_store_short v[0:1], v3, off
.LBB18_1726:
	s_mov_b64 s[0:1], 0
.LBB18_1727:
	s_andn2_b64 vcc, exec, s[0:1]
	s_cbranch_vccnz .LBB18_1743
; %bb.1728:
	v_cmp_gt_i16_e32 vcc, 2, v2
	s_mov_b64 s[0:1], -1
	s_cbranch_vccnz .LBB18_1738
; %bb.1729:
	v_cmp_gt_i16_e32 vcc, 3, v2
	s_cbranch_vccnz .LBB18_1735
; %bb.1730:
	v_cmp_lt_i16_e32 vcc, 3, v2
	s_cbranch_vccz .LBB18_1732
; %bb.1731:
	v_trunc_f32_e32 v3, v14
	s_mov_b32 s0, 0x2f800000
	v_mul_f32_e64 v4, |v3|, s0
	v_floor_f32_e32 v4, v4
	s_mov_b32 s0, 0xcf800000
	v_cvt_u32_f32_e32 v5, v4
	v_fma_f32 v4, v4, s0, |v3|
	v_cvt_u32_f32_e32 v4, v4
	v_ashrrev_i32_e32 v3, 31, v3
	v_xor_b32_e32 v5, v5, v3
	s_mov_b64 s[0:1], 0
	v_xor_b32_e32 v4, v4, v3
	v_sub_co_u32_e32 v4, vcc, v4, v3
	v_subb_co_u32_e32 v5, vcc, v5, v3, vcc
	s_waitcnt vmcnt(0)
	global_store_dwordx2 v[0:1], v[4:5], off
.LBB18_1732:
	s_andn2_b64 vcc, exec, s[0:1]
	s_cbranch_vccnz .LBB18_1734
; %bb.1733:
	v_cvt_i32_f32_e32 v3, v14
	s_waitcnt vmcnt(0)
	global_store_dword v[0:1], v3, off
.LBB18_1734:
	s_mov_b64 s[0:1], 0
.LBB18_1735:
	s_andn2_b64 vcc, exec, s[0:1]
	s_cbranch_vccnz .LBB18_1737
; %bb.1736:
	v_cvt_i32_f32_e32 v3, v14
	s_waitcnt vmcnt(0)
	global_store_short v[0:1], v3, off
.LBB18_1737:
	s_mov_b64 s[0:1], 0
.LBB18_1738:
	s_andn2_b64 vcc, exec, s[0:1]
	s_cbranch_vccnz .LBB18_1743
; %bb.1739:
	v_cmp_lt_i16_e32 vcc, 0, v2
	s_mov_b64 s[0:1], -1
	s_cbranch_vccz .LBB18_1741
; %bb.1740:
	v_cvt_i32_f32_e32 v2, v14
	s_mov_b64 s[0:1], 0
	s_waitcnt vmcnt(0)
	global_store_byte v[0:1], v2, off
.LBB18_1741:
	s_andn2_b64 vcc, exec, s[0:1]
	s_cbranch_vccnz .LBB18_1743
; %bb.1742:
	v_trunc_f32_e32 v2, v14
	s_mov_b32 s0, 0x2f800000
	v_mul_f32_e64 v3, |v2|, s0
	v_floor_f32_e32 v3, v3
	s_mov_b32 s0, 0xcf800000
	v_fma_f32 v3, v3, s0, |v2|
	v_cvt_u32_f32_e32 v3, v3
	v_ashrrev_i32_e32 v2, 31, v2
	v_xor_b32_e32 v3, v3, v2
	v_sub_u32_e32 v2, v3, v2
	s_waitcnt vmcnt(0)
	global_store_byte v[0:1], v2, off
	s_endpgm
.LBB18_1743:
	s_endpgm
.LBB18_1744:
	s_mov_b64 s[0:1], -1
	s_mov_b64 s[6:7], 0
	s_branch .LBB18_1820
.LBB18_1745:
	s_mov_b64 s[0:1], 0
	s_branch .LBB18_1759
.LBB18_1746:
	s_mov_b64 s[0:1], 0
	s_branch .LBB18_1755
.LBB18_1747:
	s_trap 2
	s_or_b64 s[2:3], s[2:3], exec
                                        ; implicit-def: $vgpr1
	s_cbranch_execz .LBB18_1635
	s_branch .LBB18_1636
.LBB18_1748:
	s_mov_b64 s[0:1], 0
.LBB18_1749:
	s_and_b64 vcc, exec, s[10:11]
	s_cbranch_vccz .LBB18_1754
; %bb.1750:
	v_mov_b32_e32 v1, 44
	v_cmp_eq_u16_sdwa s[10:11], s14, v1 src0_sel:BYTE_0 src1_sel:DWORD
	s_mov_b64 s[0:1], -1
	s_and_b64 vcc, exec, s[10:11]
	s_cbranch_vccz .LBB18_1754
; %bb.1751:
	v_bfe_u32 v1, v8, 23, 8
	s_movk_i32 s0, 0xff
	v_cmp_ne_u32_e32 vcc, s0, v1
	v_mov_b32_e32 v3, 0xff
	s_and_saveexec_b64 s[6:7], vcc
; %bb.1752:
	s_mov_b32 s0, 0x3fffff
	v_and_b32_e32 v5, 0x400000, v8
	v_and_or_b32 v1, v8, s0, v1
	v_cmp_ne_u32_e32 vcc, 0, v5
	v_cmp_ne_u32_e64 s[0:1], 0, v1
	s_and_b64 s[0:1], vcc, s[0:1]
	v_lshrrev_b32_e32 v3, 23, v8
	v_cndmask_b32_e64 v1, 0, 1, s[0:1]
	v_add_u32_e32 v3, v3, v1
; %bb.1753:
	s_or_b64 exec, exec, s[6:7]
	s_mov_b64 s[0:1], 0
	s_mov_b64 s[6:7], -1
	global_store_byte v[6:7], v3, off
.LBB18_1754:
	s_mov_b64 s[10:11], 0
.LBB18_1755:
	s_and_b64 vcc, exec, s[10:11]
	s_cbranch_vccz .LBB18_1758
; %bb.1756:
	v_mov_b32_e32 v1, 29
	v_cmp_eq_u16_sdwa s[10:11], s14, v1 src0_sel:BYTE_0 src1_sel:DWORD
	s_mov_b64 s[0:1], -1
	s_and_b64 vcc, exec, s[10:11]
	s_cbranch_vccz .LBB18_1758
; %bb.1757:
	v_trunc_f32_e32 v1, v8
	v_mul_f32_e32 v3, 0x2f800000, v1
	v_floor_f32_e32 v3, v3
	v_fmac_f32_e32 v1, 0xcf800000, v3
	v_cvt_u32_f32_e32 v17, v3
	v_cvt_u32_f32_e32 v16, v1
	s_mov_b64 s[0:1], 0
	s_mov_b64 s[6:7], -1
	s_mov_b64 s[10:11], 0
	global_store_dwordx2 v[6:7], v[16:17], off
	s_branch .LBB18_1759
.LBB18_1758:
	s_mov_b64 s[10:11], 0
.LBB18_1759:
	s_and_b64 vcc, exec, s[10:11]
	s_cbranch_vccz .LBB18_1775
; %bb.1760:
	v_mov_b32_e32 v1, 27
	v_cmp_lt_i16_sdwa s[10:11], s14, v1 src0_sel:BYTE_0 src1_sel:DWORD
	s_mov_b64 s[6:7], -1
	s_and_b64 vcc, exec, s[10:11]
	s_cbranch_vccnz .LBB18_1766
; %bb.1761:
	v_cmp_gt_i16_sdwa s[10:11], s14, v1 src0_sel:BYTE_0 src1_sel:DWORD
	v_cvt_u32_f32_e32 v1, v8
	s_and_b64 vcc, exec, s[10:11]
	s_cbranch_vccz .LBB18_1763
; %bb.1762:
	s_mov_b64 s[6:7], 0
	global_store_dword v[6:7], v1, off
.LBB18_1763:
	s_andn2_b64 vcc, exec, s[6:7]
	s_cbranch_vccnz .LBB18_1765
; %bb.1764:
	global_store_short v[6:7], v1, off
.LBB18_1765:
	s_mov_b64 s[6:7], 0
.LBB18_1766:
	s_andn2_b64 vcc, exec, s[6:7]
	s_cbranch_vccnz .LBB18_1774
; %bb.1767:
	v_and_b32_e32 v1, 0x7fffffff, v8
	s_mov_b32 s6, 0x43800000
	v_cmp_gt_u32_e32 vcc, s6, v1
	v_mov_b32_e32 v3, 0x80
	s_and_saveexec_b64 s[6:7], vcc
	s_cbranch_execz .LBB18_1773
; %bb.1768:
	s_mov_b32 s10, 0x3bffffff
	v_cmp_lt_u32_e32 vcc, s10, v1
	s_mov_b64 s[10:11], 0
                                        ; implicit-def: $vgpr1
	s_and_saveexec_b64 s[12:13], vcc
	s_xor_b64 s[12:13], exec, s[12:13]
	s_cbranch_execz .LBB18_1869
; %bb.1769:
	v_bfe_u32 v1, v8, 20, 1
	s_mov_b32 s15, 0x487ffff
	v_add3_u32 v1, v8, v1, s15
	s_mov_b64 s[10:11], exec
	v_lshrrev_b32_e32 v1, 20, v1
	s_or_saveexec_b64 s[12:13], s[12:13]
                                        ; implicit-def: $sgpr15
	s_xor_b64 exec, exec, s[12:13]
	s_cbranch_execnz .LBB18_1870
.LBB18_1770:
	s_or_b64 exec, exec, s[12:13]
	v_mov_b32_e32 v3, s15
	s_and_saveexec_b64 s[12:13], s[10:11]
.LBB18_1771:
	v_lshrrev_b32_e32 v3, 24, v8
	s_movk_i32 s10, 0x80
	v_and_or_b32 v3, v3, s10, v1
.LBB18_1772:
	s_or_b64 exec, exec, s[12:13]
.LBB18_1773:
	s_or_b64 exec, exec, s[6:7]
	global_store_byte v[6:7], v3, off
.LBB18_1774:
	s_mov_b64 s[6:7], -1
.LBB18_1775:
	s_mov_b64 s[10:11], 0
.LBB18_1776:
	s_and_b64 vcc, exec, s[10:11]
	s_cbranch_vccz .LBB18_1816
; %bb.1777:
	v_mov_b32_e32 v1, 22
	v_cmp_gt_i16_sdwa s[10:11], s14, v1 src0_sel:BYTE_0 src1_sel:DWORD
	s_mov_b64 s[4:5], -1
	s_and_b64 vcc, exec, s[10:11]
	s_cbranch_vccz .LBB18_1809
; %bb.1778:
	v_mov_b32_e32 v1, 24
	v_cmp_lt_i16_sdwa s[6:7], s14, v1 src0_sel:BYTE_0 src1_sel:DWORD
	s_and_b64 vcc, exec, s[6:7]
	s_cbranch_vccnz .LBB18_1798
; %bb.1779:
	v_cmp_gt_i16_sdwa s[6:7], s14, v1 src0_sel:BYTE_0 src1_sel:DWORD
	s_and_b64 vcc, exec, s[6:7]
	s_cbranch_vccz .LBB18_1787
; %bb.1780:
	v_and_b32_e32 v1, 0x7fffffff, v8
	s_mov_b32 s4, 0x47800000
	v_cmp_gt_u32_e32 vcc, s4, v1
	v_mov_b32_e32 v3, 0x80
	s_and_saveexec_b64 s[4:5], vcc
	s_cbranch_execz .LBB18_1786
; %bb.1781:
	s_mov_b32 s6, 0x37ffffff
	v_cmp_lt_u32_e32 vcc, s6, v1
	s_mov_b64 s[6:7], 0
                                        ; implicit-def: $vgpr1
	s_and_saveexec_b64 s[10:11], vcc
	s_xor_b64 s[10:11], exec, s[10:11]
	s_cbranch_execz .LBB18_1873
; %bb.1782:
	v_bfe_u32 v1, v8, 21, 1
	s_mov_b32 s12, 0x88fffff
	v_add3_u32 v1, v8, v1, s12
	s_mov_b64 s[6:7], exec
	v_lshrrev_b32_e32 v1, 21, v1
	s_or_saveexec_b64 s[10:11], s[10:11]
                                        ; implicit-def: $sgpr12
	s_xor_b64 exec, exec, s[10:11]
	s_cbranch_execnz .LBB18_1874
.LBB18_1783:
	s_or_b64 exec, exec, s[10:11]
	v_mov_b32_e32 v3, s12
	s_and_saveexec_b64 s[10:11], s[6:7]
.LBB18_1784:
	v_lshrrev_b32_e32 v3, 24, v8
	s_movk_i32 s6, 0x80
	v_and_or_b32 v3, v3, s6, v1
.LBB18_1785:
	s_or_b64 exec, exec, s[10:11]
.LBB18_1786:
	s_or_b64 exec, exec, s[4:5]
	s_mov_b64 s[4:5], 0
	global_store_byte v[6:7], v3, off
.LBB18_1787:
	s_and_b64 vcc, exec, s[4:5]
	s_cbranch_vccz .LBB18_1797
; %bb.1788:
	v_and_b32_e32 v3, 0x7fffffff, v8
	s_mov_b32 s4, 0x43f00000
	v_cmp_gt_u32_e32 vcc, s4, v3
                                        ; implicit-def: $vgpr1
	s_and_saveexec_b64 s[4:5], vcc
	s_xor_b64 s[4:5], exec, s[4:5]
	s_cbranch_execz .LBB18_1794
; %bb.1789:
	s_mov_b32 s6, 0x3c7fffff
	v_cmp_lt_u32_e32 vcc, s6, v3
                                        ; implicit-def: $vgpr1
	s_and_saveexec_b64 s[6:7], vcc
	s_xor_b64 s[6:7], exec, s[6:7]
; %bb.1790:
	v_bfe_u32 v1, v8, 20, 1
	s_mov_b32 s10, 0x407ffff
	v_add3_u32 v1, v8, v1, s10
	v_lshrrev_b32_e32 v3, 20, v1
	v_and_b32_e32 v1, 0xff00000, v1
	s_mov_b32 s10, 0x7f00000
	v_mov_b32_e32 v5, 0x7e
	v_cmp_ne_u32_e32 vcc, s10, v1
	v_cndmask_b32_e32 v1, v5, v3, vcc
; %bb.1791:
	s_andn2_saveexec_b64 s[6:7], s[6:7]
; %bb.1792:
	s_mov_b32 s10, 0x46800000
	v_add_f32_e64 v1, |v8|, s10
; %bb.1793:
	s_or_b64 exec, exec, s[6:7]
                                        ; implicit-def: $vgpr3
.LBB18_1794:
	s_andn2_saveexec_b64 s[4:5], s[4:5]
; %bb.1795:
	s_mov_b32 s6, 0x7f800000
	v_mov_b32_e32 v1, 0x7e
	v_mov_b32_e32 v5, 0x7f
	v_cmp_lt_u32_e32 vcc, s6, v3
	v_cndmask_b32_e32 v1, v1, v5, vcc
; %bb.1796:
	s_or_b64 exec, exec, s[4:5]
	v_lshrrev_b32_e32 v3, 24, v8
	s_movk_i32 s4, 0x80
	v_and_or_b32 v1, v3, s4, v1
	global_store_byte v[6:7], v1, off
.LBB18_1797:
	s_mov_b64 s[4:5], 0
.LBB18_1798:
	s_andn2_b64 vcc, exec, s[4:5]
	s_cbranch_vccnz .LBB18_1808
; %bb.1799:
	v_and_b32_e32 v3, 0x7fffffff, v8
	s_mov_b32 s4, 0x47800000
	v_cmp_gt_u32_e32 vcc, s4, v3
                                        ; implicit-def: $vgpr1
	s_and_saveexec_b64 s[4:5], vcc
	s_xor_b64 s[4:5], exec, s[4:5]
	s_cbranch_execz .LBB18_1805
; %bb.1800:
	s_mov_b32 s6, 0x387fffff
	v_cmp_lt_u32_e32 vcc, s6, v3
                                        ; implicit-def: $vgpr1
	s_and_saveexec_b64 s[6:7], vcc
	s_xor_b64 s[6:7], exec, s[6:7]
; %bb.1801:
	v_bfe_u32 v1, v8, 21, 1
	s_mov_b32 s10, 0x80fffff
	v_add3_u32 v1, v8, v1, s10
	v_lshrrev_b32_e32 v1, 21, v1
; %bb.1802:
	s_andn2_saveexec_b64 s[6:7], s[6:7]
; %bb.1803:
	s_mov_b32 s10, 0x43000000
	v_add_f32_e64 v1, |v8|, s10
; %bb.1804:
	s_or_b64 exec, exec, s[6:7]
                                        ; implicit-def: $vgpr3
.LBB18_1805:
	s_andn2_saveexec_b64 s[4:5], s[4:5]
; %bb.1806:
	s_mov_b32 s6, 0x7f800000
	v_mov_b32_e32 v1, 0x7c
	v_mov_b32_e32 v5, 0x7f
	v_cmp_lt_u32_e32 vcc, s6, v3
	v_cndmask_b32_e32 v1, v1, v5, vcc
; %bb.1807:
	s_or_b64 exec, exec, s[4:5]
	v_lshrrev_b32_e32 v3, 24, v8
	s_movk_i32 s4, 0x80
	v_and_or_b32 v1, v3, s4, v1
	global_store_byte v[6:7], v1, off
.LBB18_1808:
	s_mov_b64 s[4:5], 0
	s_mov_b64 s[6:7], -1
.LBB18_1809:
	s_andn2_b64 vcc, exec, s[4:5]
	s_mov_b64 s[4:5], 0
	s_cbranch_vccnz .LBB18_1816
; %bb.1810:
	v_mov_b32_e32 v1, 14
	v_cmp_gt_i16_sdwa s[4:5], s14, v1 src0_sel:BYTE_0 src1_sel:DWORD
	s_mov_b64 s[10:11], -1
	s_and_b64 vcc, exec, s[4:5]
	s_cbranch_vccz .LBB18_1814
; %bb.1811:
	v_mov_b32_e32 v1, 15
	v_cmp_eq_u16_sdwa s[4:5], s14, v1 src0_sel:BYTE_0 src1_sel:DWORD
	s_mov_b64 s[0:1], -1
	s_and_b64 vcc, exec, s[4:5]
	s_cbranch_vccz .LBB18_1813
; %bb.1812:
	v_bfe_u32 v1, v8, 16, 1
	s_movk_i32 s0, 0x7fff
	v_add3_u32 v1, v8, v1, s0
	v_lshrrev_b32_e32 v1, 16, v1
	v_mov_b32_e32 v3, 0x7fc0
	v_cmp_o_f32_e32 vcc, v8, v8
	v_cndmask_b32_e32 v1, v3, v1, vcc
	global_store_short v[6:7], v1, off
	s_mov_b64 s[0:1], 0
	s_mov_b64 s[6:7], -1
.LBB18_1813:
	s_mov_b64 s[10:11], 0
.LBB18_1814:
	s_mov_b64 s[4:5], 0
	s_and_b64 vcc, exec, s[10:11]
	s_cbranch_vccz .LBB18_1816
; %bb.1815:
	v_mov_b32_e32 v1, 11
	v_cmp_ne_u16_sdwa s[0:1], s14, v1 src0_sel:BYTE_0 src1_sel:DWORD
	s_mov_b64 s[4:5], -1
.LBB18_1816:
	s_and_b64 vcc, exec, s[0:1]
	s_cbranch_vccnz .LBB18_1872
; %bb.1817:
	s_andn2_b64 vcc, exec, s[4:5]
	s_cbranch_vccnz .LBB18_1819
.LBB18_1818:
	v_cmp_neq_f32_e32 vcc, 0, v8
	v_cndmask_b32_e64 v1, 0, 1, vcc
	s_mov_b64 s[6:7], -1
	global_store_byte v[6:7], v1, off
.LBB18_1819:
	s_mov_b64 s[0:1], 0
.LBB18_1820:
	s_and_b64 vcc, exec, s[0:1]
	s_cbranch_vccz .LBB18_1859
; %bb.1821:
	v_mov_b32_e32 v1, 5
	v_cmp_lt_i16_sdwa s[4:5], s14, v1 src0_sel:BYTE_0 src1_sel:DWORD
	s_mov_b64 s[0:1], -1
	s_and_b64 vcc, exec, s[4:5]
	s_cbranch_vccnz .LBB18_1842
; %bb.1822:
	v_mov_b32_e32 v1, 8
	v_cmp_lt_i16_sdwa s[4:5], s14, v1 src0_sel:BYTE_0 src1_sel:DWORD
	s_and_b64 vcc, exec, s[4:5]
	s_cbranch_vccnz .LBB18_1832
; %bb.1823:
	v_mov_b32_e32 v1, 9
	v_cmp_lt_i16_sdwa s[4:5], s14, v1 src0_sel:BYTE_0 src1_sel:DWORD
	s_and_b64 vcc, exec, s[4:5]
	s_cbranch_vccnz .LBB18_1829
; %bb.1824:
	v_cmp_gt_i16_sdwa s[4:5], s14, v1 src0_sel:BYTE_0 src1_sel:DWORD
	s_and_b64 vcc, exec, s[4:5]
	s_cbranch_vccz .LBB18_1826
; %bb.1825:
	v_mov_b32_e32 v18, 0
	v_cvt_f64_f32_e32 v[16:17], v8
	v_mov_b32_e32 v19, v18
	global_store_dwordx4 v[6:7], v[16:19], off
	s_mov_b64 s[0:1], 0
.LBB18_1826:
	s_andn2_b64 vcc, exec, s[0:1]
	s_cbranch_vccnz .LBB18_1828
; %bb.1827:
	v_mov_b32_e32 v9, 0
	global_store_dwordx2 v[6:7], v[8:9], off
.LBB18_1828:
	s_mov_b64 s[0:1], 0
.LBB18_1829:
	s_andn2_b64 vcc, exec, s[0:1]
	s_cbranch_vccnz .LBB18_1831
; %bb.1830:
	v_cvt_f16_f32_e32 v1, v8
	global_store_dword v[6:7], v1, off
.LBB18_1831:
	s_mov_b64 s[0:1], 0
.LBB18_1832:
	s_andn2_b64 vcc, exec, s[0:1]
	s_cbranch_vccnz .LBB18_1841
; %bb.1833:
	v_mov_b32_e32 v1, 6
	v_cmp_lt_i16_sdwa s[4:5], s14, v1 src0_sel:BYTE_0 src1_sel:DWORD
	s_mov_b64 s[0:1], -1
	s_and_b64 vcc, exec, s[4:5]
	s_cbranch_vccnz .LBB18_1839
; %bb.1834:
	v_cmp_gt_i16_sdwa s[4:5], s14, v1 src0_sel:BYTE_0 src1_sel:DWORD
	s_and_b64 vcc, exec, s[4:5]
	s_cbranch_vccz .LBB18_1836
; %bb.1835:
	v_cvt_f64_f32_e32 v[16:17], v8
	global_store_dwordx2 v[6:7], v[16:17], off
	s_mov_b64 s[0:1], 0
.LBB18_1836:
	s_andn2_b64 vcc, exec, s[0:1]
	s_cbranch_vccnz .LBB18_1838
; %bb.1837:
	global_store_dword v[6:7], v8, off
.LBB18_1838:
	s_mov_b64 s[0:1], 0
.LBB18_1839:
	s_andn2_b64 vcc, exec, s[0:1]
	s_cbranch_vccnz .LBB18_1841
; %bb.1840:
	v_cvt_f16_f32_e32 v1, v8
	global_store_short v[6:7], v1, off
.LBB18_1841:
	s_mov_b64 s[0:1], 0
.LBB18_1842:
	s_andn2_b64 vcc, exec, s[0:1]
	s_cbranch_vccnz .LBB18_1858
; %bb.1843:
	v_mov_b32_e32 v1, 2
	v_cmp_lt_i16_sdwa s[4:5], s14, v1 src0_sel:BYTE_0 src1_sel:DWORD
	s_mov_b64 s[0:1], -1
	s_and_b64 vcc, exec, s[4:5]
	s_cbranch_vccnz .LBB18_1853
; %bb.1844:
	v_mov_b32_e32 v1, 3
	v_cmp_lt_i16_sdwa s[4:5], s14, v1 src0_sel:BYTE_0 src1_sel:DWORD
	s_and_b64 vcc, exec, s[4:5]
	s_cbranch_vccnz .LBB18_1850
; %bb.1845:
	v_cmp_gt_i16_sdwa s[4:5], s14, v1 src0_sel:BYTE_0 src1_sel:DWORD
	s_and_b64 vcc, exec, s[4:5]
	s_cbranch_vccz .LBB18_1847
; %bb.1846:
	v_trunc_f32_e32 v1, v8
	s_mov_b32 s0, 0x2f800000
	v_mul_f32_e64 v3, |v1|, s0
	v_floor_f32_e32 v3, v3
	s_mov_b32 s0, 0xcf800000
	v_cvt_u32_f32_e32 v5, v3
	v_fma_f32 v3, v3, s0, |v1|
	v_cvt_u32_f32_e32 v3, v3
	v_ashrrev_i32_e32 v1, 31, v1
	v_xor_b32_e32 v5, v5, v1
	s_mov_b64 s[0:1], 0
	v_xor_b32_e32 v3, v3, v1
	v_sub_co_u32_e32 v16, vcc, v3, v1
	v_subb_co_u32_e32 v17, vcc, v5, v1, vcc
	global_store_dwordx2 v[6:7], v[16:17], off
.LBB18_1847:
	s_andn2_b64 vcc, exec, s[0:1]
	s_cbranch_vccnz .LBB18_1849
; %bb.1848:
	v_cvt_i32_f32_e32 v1, v8
	global_store_dword v[6:7], v1, off
.LBB18_1849:
	s_mov_b64 s[0:1], 0
.LBB18_1850:
	s_andn2_b64 vcc, exec, s[0:1]
	s_cbranch_vccnz .LBB18_1852
; %bb.1851:
	v_cvt_i32_f32_e32 v1, v8
	global_store_short v[6:7], v1, off
.LBB18_1852:
	s_mov_b64 s[0:1], 0
.LBB18_1853:
	s_andn2_b64 vcc, exec, s[0:1]
	s_cbranch_vccnz .LBB18_1858
; %bb.1854:
	v_mov_b32_e32 v1, 0
	v_cmp_gt_i16_sdwa s[4:5], s14, v1 src0_sel:BYTE_0 src1_sel:DWORD
	s_mov_b64 s[0:1], -1
	s_and_b64 vcc, exec, s[4:5]
	s_cbranch_vccz .LBB18_1856
; %bb.1855:
	v_cvt_i32_f32_e32 v1, v8
	s_mov_b64 s[0:1], 0
	global_store_byte v[6:7], v1, off
.LBB18_1856:
	s_andn2_b64 vcc, exec, s[0:1]
	s_cbranch_vccnz .LBB18_1858
; %bb.1857:
	v_trunc_f32_e32 v1, v8
	s_mov_b32 s0, 0x2f800000
	v_mul_f32_e64 v3, |v1|, s0
	v_floor_f32_e32 v3, v3
	s_mov_b32 s0, 0xcf800000
	v_fma_f32 v3, v3, s0, |v1|
	v_cvt_u32_f32_e32 v3, v3
	v_ashrrev_i32_e32 v1, 31, v1
	v_xor_b32_e32 v3, v3, v1
	v_sub_u32_e32 v1, v3, v1
	global_store_byte v[6:7], v1, off
.LBB18_1858:
	s_mov_b64 s[6:7], -1
.LBB18_1859:
	s_andn2_b64 vcc, exec, s[6:7]
	s_cbranch_vccnz .LBB18_2190
; %bb.1860:
	v_mov_b32_e32 v1, s9
	v_add_co_u32_e32 v4, vcc, s8, v4
	v_addc_co_u32_e32 v5, vcc, 0, v1, vcc
	v_mov_b32_e32 v1, 11
	v_cmp_lt_i16_sdwa s[0:1], s14, v1 src0_sel:BYTE_0 src1_sel:DWORD
	s_and_b64 vcc, exec, s[0:1]
	s_cbranch_vccnz .LBB18_1867
; %bb.1861:
	v_mov_b32_e32 v1, 25
	v_cmp_gt_i16_sdwa s[0:1], s14, v1 src0_sel:BYTE_0 src1_sel:DWORD
	s_mov_b64 s[10:11], -1
	s_mov_b64 s[4:5], 0
	s_and_b64 vcc, exec, s[0:1]
	s_mov_b64 s[6:7], 0
	s_mov_b64 s[0:1], 0
	s_cbranch_vccz .LBB18_1903
; %bb.1862:
	v_mov_b32_e32 v1, 28
	v_cmp_gt_i16_sdwa s[0:1], s14, v1 src0_sel:BYTE_0 src1_sel:DWORD
	s_and_b64 vcc, exec, s[0:1]
	s_cbranch_vccz .LBB18_1868
; %bb.1863:
	v_mov_b32_e32 v1, 43
	v_cmp_gt_i16_sdwa s[0:1], s14, v1 src0_sel:BYTE_0 src1_sel:DWORD
	s_and_b64 vcc, exec, s[0:1]
	;; [unrolled: 5-line block ×3, first 2 shown]
	s_cbranch_vccz .LBB18_1875
; %bb.1865:
	v_mov_b32_e32 v1, 46
	v_cmp_eq_u16_sdwa s[6:7], s14, v1 src0_sel:BYTE_0 src1_sel:DWORD
	s_mov_b64 s[0:1], -1
	s_mov_b64 s[10:11], 0
	s_and_b64 vcc, exec, s[6:7]
	s_mov_b64 s[6:7], 0
	s_cbranch_vccz .LBB18_1876
; %bb.1866:
	v_bfe_u32 v1, v10, 16, 1
	s_movk_i32 s0, 0x7fff
	v_add3_u32 v1, v10, v1, s0
	v_lshrrev_b32_e32 v1, 16, v1
	v_mov_b32_e32 v3, 0x7fc0
	v_cmp_o_f32_e32 vcc, v10, v10
	v_cndmask_b32_e32 v1, v3, v1, vcc
	global_store_dword v[4:5], v1, off
	s_mov_b64 s[0:1], 0
	s_mov_b64 s[6:7], -1
	s_branch .LBB18_1876
.LBB18_1867:
	s_mov_b64 s[0:1], -1
	s_mov_b64 s[6:7], 0
	s_branch .LBB18_1947
.LBB18_1868:
	s_mov_b64 s[0:1], 0
	s_branch .LBB18_1886
.LBB18_1869:
	s_or_saveexec_b64 s[12:13], s[12:13]
                                        ; implicit-def: $sgpr15
	s_xor_b64 exec, exec, s[12:13]
	s_cbranch_execz .LBB18_1770
.LBB18_1870:
	s_mov_b32 s15, 0x46000000
	v_add_f32_e64 v1, |v8|, s15
	v_and_b32_e32 v1, 0xff, v1
	v_cmp_ne_u32_e32 vcc, 0, v1
	s_andn2_b64 s[10:11], s[10:11], exec
	s_and_b64 s[16:17], vcc, exec
	s_mov_b32 s15, 0
	s_or_b64 s[10:11], s[10:11], s[16:17]
	s_or_b64 exec, exec, s[12:13]
	v_mov_b32_e32 v3, s15
	s_and_saveexec_b64 s[12:13], s[10:11]
	s_cbranch_execnz .LBB18_1771
	s_branch .LBB18_1772
.LBB18_1871:
	s_mov_b64 s[0:1], 0
	s_branch .LBB18_1882
.LBB18_1872:
	s_trap 2
	s_or_b64 s[2:3], s[2:3], exec
	s_cbranch_execz .LBB18_1818
	s_branch .LBB18_1819
.LBB18_1873:
	s_or_saveexec_b64 s[10:11], s[10:11]
                                        ; implicit-def: $sgpr12
	s_xor_b64 exec, exec, s[10:11]
	s_cbranch_execz .LBB18_1783
.LBB18_1874:
	s_mov_b32 s12, 0x42800000
	v_add_f32_e64 v1, |v8|, s12
	v_and_b32_e32 v1, 0xff, v1
	v_cmp_ne_u32_e32 vcc, 0, v1
	s_andn2_b64 s[6:7], s[6:7], exec
	s_and_b64 s[16:17], vcc, exec
	s_mov_b32 s12, 0
	s_or_b64 s[6:7], s[6:7], s[16:17]
	s_or_b64 exec, exec, s[10:11]
	v_mov_b32_e32 v3, s12
	s_and_saveexec_b64 s[10:11], s[6:7]
	s_cbranch_execnz .LBB18_1784
	s_branch .LBB18_1785
.LBB18_1875:
	s_mov_b64 s[0:1], 0
.LBB18_1876:
	s_and_b64 vcc, exec, s[10:11]
	s_cbranch_vccz .LBB18_1881
; %bb.1877:
	v_mov_b32_e32 v1, 44
	v_cmp_eq_u16_sdwa s[10:11], s14, v1 src0_sel:BYTE_0 src1_sel:DWORD
	s_mov_b64 s[0:1], -1
	s_and_b64 vcc, exec, s[10:11]
	s_cbranch_vccz .LBB18_1881
; %bb.1878:
	v_bfe_u32 v1, v10, 23, 8
	s_movk_i32 s0, 0xff
	v_cmp_ne_u32_e32 vcc, s0, v1
	v_mov_b32_e32 v3, 0xff
	s_and_saveexec_b64 s[6:7], vcc
; %bb.1879:
	s_mov_b32 s0, 0x3fffff
	v_and_b32_e32 v6, 0x400000, v10
	v_and_or_b32 v1, v10, s0, v1
	v_cmp_ne_u32_e32 vcc, 0, v6
	v_cmp_ne_u32_e64 s[0:1], 0, v1
	s_and_b64 s[0:1], vcc, s[0:1]
	v_lshrrev_b32_e32 v3, 23, v10
	v_cndmask_b32_e64 v1, 0, 1, s[0:1]
	v_add_u32_e32 v3, v3, v1
; %bb.1880:
	s_or_b64 exec, exec, s[6:7]
	s_mov_b64 s[0:1], 0
	s_mov_b64 s[6:7], -1
	global_store_byte v[4:5], v3, off
.LBB18_1881:
	s_mov_b64 s[10:11], 0
.LBB18_1882:
	s_and_b64 vcc, exec, s[10:11]
	s_cbranch_vccz .LBB18_1885
; %bb.1883:
	v_mov_b32_e32 v1, 29
	v_cmp_eq_u16_sdwa s[10:11], s14, v1 src0_sel:BYTE_0 src1_sel:DWORD
	s_mov_b64 s[0:1], -1
	s_and_b64 vcc, exec, s[10:11]
	s_cbranch_vccz .LBB18_1885
; %bb.1884:
	v_trunc_f32_e32 v1, v10
	v_mul_f32_e32 v3, 0x2f800000, v1
	v_floor_f32_e32 v3, v3
	v_fmac_f32_e32 v1, 0xcf800000, v3
	v_cvt_u32_f32_e32 v7, v3
	v_cvt_u32_f32_e32 v6, v1
	s_mov_b64 s[0:1], 0
	s_mov_b64 s[6:7], -1
	s_mov_b64 s[10:11], 0
	global_store_dwordx2 v[4:5], v[6:7], off
	s_branch .LBB18_1886
.LBB18_1885:
	s_mov_b64 s[10:11], 0
.LBB18_1886:
	s_and_b64 vcc, exec, s[10:11]
	s_cbranch_vccz .LBB18_1902
; %bb.1887:
	v_mov_b32_e32 v1, 27
	v_cmp_lt_i16_sdwa s[10:11], s14, v1 src0_sel:BYTE_0 src1_sel:DWORD
	s_mov_b64 s[6:7], -1
	s_and_b64 vcc, exec, s[10:11]
	s_cbranch_vccnz .LBB18_1893
; %bb.1888:
	v_cmp_gt_i16_sdwa s[10:11], s14, v1 src0_sel:BYTE_0 src1_sel:DWORD
	s_and_b64 vcc, exec, s[10:11]
	s_cbranch_vccz .LBB18_1890
; %bb.1889:
	v_cvt_u32_f32_e32 v1, v10
	s_mov_b64 s[6:7], 0
	global_store_dword v[4:5], v1, off
.LBB18_1890:
	s_andn2_b64 vcc, exec, s[6:7]
	s_cbranch_vccnz .LBB18_1892
; %bb.1891:
	v_cvt_u32_f32_e32 v1, v10
	global_store_short v[4:5], v1, off
.LBB18_1892:
	s_mov_b64 s[6:7], 0
.LBB18_1893:
	s_andn2_b64 vcc, exec, s[6:7]
	s_cbranch_vccnz .LBB18_1901
; %bb.1894:
	v_and_b32_e32 v1, 0x7fffffff, v10
	s_mov_b32 s6, 0x43800000
	v_cmp_gt_u32_e32 vcc, s6, v1
	v_mov_b32_e32 v3, 0x80
	s_and_saveexec_b64 s[6:7], vcc
	s_cbranch_execz .LBB18_1900
; %bb.1895:
	s_mov_b32 s10, 0x3bffffff
	v_cmp_lt_u32_e32 vcc, s10, v1
	s_mov_b64 s[10:11], 0
                                        ; implicit-def: $vgpr1
	s_and_saveexec_b64 s[12:13], vcc
	s_xor_b64 s[12:13], exec, s[12:13]
	s_cbranch_execz .LBB18_1996
; %bb.1896:
	v_bfe_u32 v1, v10, 20, 1
	s_mov_b32 s15, 0x487ffff
	v_add3_u32 v1, v10, v1, s15
	s_mov_b64 s[10:11], exec
	v_lshrrev_b32_e32 v1, 20, v1
	s_or_saveexec_b64 s[12:13], s[12:13]
                                        ; implicit-def: $sgpr15
	s_xor_b64 exec, exec, s[12:13]
	s_cbranch_execnz .LBB18_1997
.LBB18_1897:
	s_or_b64 exec, exec, s[12:13]
	v_mov_b32_e32 v3, s15
	s_and_saveexec_b64 s[12:13], s[10:11]
.LBB18_1898:
	v_lshrrev_b32_e32 v3, 24, v10
	s_movk_i32 s10, 0x80
	v_and_or_b32 v3, v3, s10, v1
.LBB18_1899:
	s_or_b64 exec, exec, s[12:13]
.LBB18_1900:
	s_or_b64 exec, exec, s[6:7]
	global_store_byte v[4:5], v3, off
.LBB18_1901:
	s_mov_b64 s[6:7], -1
.LBB18_1902:
	s_mov_b64 s[10:11], 0
.LBB18_1903:
	s_and_b64 vcc, exec, s[10:11]
	s_cbranch_vccz .LBB18_1943
; %bb.1904:
	v_mov_b32_e32 v1, 22
	v_cmp_gt_i16_sdwa s[10:11], s14, v1 src0_sel:BYTE_0 src1_sel:DWORD
	s_mov_b64 s[4:5], -1
	s_and_b64 vcc, exec, s[10:11]
	s_cbranch_vccz .LBB18_1936
; %bb.1905:
	v_mov_b32_e32 v1, 24
	v_cmp_lt_i16_sdwa s[6:7], s14, v1 src0_sel:BYTE_0 src1_sel:DWORD
	s_and_b64 vcc, exec, s[6:7]
	s_cbranch_vccnz .LBB18_1925
; %bb.1906:
	v_cmp_gt_i16_sdwa s[6:7], s14, v1 src0_sel:BYTE_0 src1_sel:DWORD
	s_and_b64 vcc, exec, s[6:7]
	s_cbranch_vccz .LBB18_1914
; %bb.1907:
	v_and_b32_e32 v1, 0x7fffffff, v10
	s_mov_b32 s4, 0x47800000
	v_cmp_gt_u32_e32 vcc, s4, v1
	v_mov_b32_e32 v3, 0x80
	s_and_saveexec_b64 s[4:5], vcc
	s_cbranch_execz .LBB18_1913
; %bb.1908:
	s_mov_b32 s6, 0x37ffffff
	v_cmp_lt_u32_e32 vcc, s6, v1
	s_mov_b64 s[6:7], 0
                                        ; implicit-def: $vgpr1
	s_and_saveexec_b64 s[10:11], vcc
	s_xor_b64 s[10:11], exec, s[10:11]
	s_cbranch_execz .LBB18_2000
; %bb.1909:
	v_bfe_u32 v1, v10, 21, 1
	s_mov_b32 s12, 0x88fffff
	v_add3_u32 v1, v10, v1, s12
	s_mov_b64 s[6:7], exec
	v_lshrrev_b32_e32 v1, 21, v1
	s_or_saveexec_b64 s[10:11], s[10:11]
                                        ; implicit-def: $sgpr12
	s_xor_b64 exec, exec, s[10:11]
	s_cbranch_execnz .LBB18_2001
.LBB18_1910:
	s_or_b64 exec, exec, s[10:11]
	v_mov_b32_e32 v3, s12
	s_and_saveexec_b64 s[10:11], s[6:7]
.LBB18_1911:
	v_lshrrev_b32_e32 v3, 24, v10
	s_movk_i32 s6, 0x80
	v_and_or_b32 v3, v3, s6, v1
.LBB18_1912:
	s_or_b64 exec, exec, s[10:11]
.LBB18_1913:
	s_or_b64 exec, exec, s[4:5]
	s_mov_b64 s[4:5], 0
	global_store_byte v[4:5], v3, off
.LBB18_1914:
	s_and_b64 vcc, exec, s[4:5]
	s_cbranch_vccz .LBB18_1924
; %bb.1915:
	v_and_b32_e32 v3, 0x7fffffff, v10
	s_mov_b32 s4, 0x43f00000
	v_cmp_gt_u32_e32 vcc, s4, v3
                                        ; implicit-def: $vgpr1
	s_and_saveexec_b64 s[4:5], vcc
	s_xor_b64 s[4:5], exec, s[4:5]
	s_cbranch_execz .LBB18_1921
; %bb.1916:
	s_mov_b32 s6, 0x3c7fffff
	v_cmp_lt_u32_e32 vcc, s6, v3
                                        ; implicit-def: $vgpr1
	s_and_saveexec_b64 s[6:7], vcc
	s_xor_b64 s[6:7], exec, s[6:7]
; %bb.1917:
	v_bfe_u32 v1, v10, 20, 1
	s_mov_b32 s10, 0x407ffff
	v_add3_u32 v1, v10, v1, s10
	v_lshrrev_b32_e32 v3, 20, v1
	v_and_b32_e32 v1, 0xff00000, v1
	s_mov_b32 s10, 0x7f00000
	v_mov_b32_e32 v6, 0x7e
	v_cmp_ne_u32_e32 vcc, s10, v1
	v_cndmask_b32_e32 v1, v6, v3, vcc
; %bb.1918:
	s_andn2_saveexec_b64 s[6:7], s[6:7]
; %bb.1919:
	s_mov_b32 s10, 0x46800000
	v_add_f32_e64 v1, |v10|, s10
; %bb.1920:
	s_or_b64 exec, exec, s[6:7]
                                        ; implicit-def: $vgpr3
.LBB18_1921:
	s_andn2_saveexec_b64 s[4:5], s[4:5]
; %bb.1922:
	s_mov_b32 s6, 0x7f800000
	v_mov_b32_e32 v1, 0x7e
	v_mov_b32_e32 v6, 0x7f
	v_cmp_lt_u32_e32 vcc, s6, v3
	v_cndmask_b32_e32 v1, v1, v6, vcc
; %bb.1923:
	s_or_b64 exec, exec, s[4:5]
	v_lshrrev_b32_e32 v3, 24, v10
	s_movk_i32 s4, 0x80
	v_and_or_b32 v1, v3, s4, v1
	global_store_byte v[4:5], v1, off
.LBB18_1924:
	s_mov_b64 s[4:5], 0
.LBB18_1925:
	s_andn2_b64 vcc, exec, s[4:5]
	s_cbranch_vccnz .LBB18_1935
; %bb.1926:
	v_and_b32_e32 v3, 0x7fffffff, v10
	s_mov_b32 s4, 0x47800000
	v_cmp_gt_u32_e32 vcc, s4, v3
                                        ; implicit-def: $vgpr1
	s_and_saveexec_b64 s[4:5], vcc
	s_xor_b64 s[4:5], exec, s[4:5]
	s_cbranch_execz .LBB18_1932
; %bb.1927:
	s_mov_b32 s6, 0x387fffff
	v_cmp_lt_u32_e32 vcc, s6, v3
                                        ; implicit-def: $vgpr1
	s_and_saveexec_b64 s[6:7], vcc
	s_xor_b64 s[6:7], exec, s[6:7]
; %bb.1928:
	v_bfe_u32 v1, v10, 21, 1
	s_mov_b32 s10, 0x80fffff
	v_add3_u32 v1, v10, v1, s10
	v_lshrrev_b32_e32 v1, 21, v1
; %bb.1929:
	s_andn2_saveexec_b64 s[6:7], s[6:7]
; %bb.1930:
	s_mov_b32 s10, 0x43000000
	v_add_f32_e64 v1, |v10|, s10
; %bb.1931:
	s_or_b64 exec, exec, s[6:7]
                                        ; implicit-def: $vgpr3
.LBB18_1932:
	s_andn2_saveexec_b64 s[4:5], s[4:5]
; %bb.1933:
	s_mov_b32 s6, 0x7f800000
	v_mov_b32_e32 v1, 0x7c
	v_mov_b32_e32 v6, 0x7f
	v_cmp_lt_u32_e32 vcc, s6, v3
	v_cndmask_b32_e32 v1, v1, v6, vcc
; %bb.1934:
	s_or_b64 exec, exec, s[4:5]
	v_lshrrev_b32_e32 v3, 24, v10
	s_movk_i32 s4, 0x80
	v_and_or_b32 v1, v3, s4, v1
	global_store_byte v[4:5], v1, off
.LBB18_1935:
	s_mov_b64 s[4:5], 0
	s_mov_b64 s[6:7], -1
.LBB18_1936:
	s_andn2_b64 vcc, exec, s[4:5]
	s_mov_b64 s[4:5], 0
	s_cbranch_vccnz .LBB18_1943
; %bb.1937:
	v_mov_b32_e32 v1, 14
	v_cmp_gt_i16_sdwa s[4:5], s14, v1 src0_sel:BYTE_0 src1_sel:DWORD
	s_mov_b64 s[10:11], -1
	s_and_b64 vcc, exec, s[4:5]
	s_cbranch_vccz .LBB18_1941
; %bb.1938:
	v_mov_b32_e32 v1, 15
	v_cmp_eq_u16_sdwa s[4:5], s14, v1 src0_sel:BYTE_0 src1_sel:DWORD
	s_mov_b64 s[0:1], -1
	s_and_b64 vcc, exec, s[4:5]
	s_cbranch_vccz .LBB18_1940
; %bb.1939:
	v_bfe_u32 v1, v10, 16, 1
	s_movk_i32 s0, 0x7fff
	v_add3_u32 v1, v10, v1, s0
	v_lshrrev_b32_e32 v1, 16, v1
	v_mov_b32_e32 v3, 0x7fc0
	v_cmp_o_f32_e32 vcc, v10, v10
	v_cndmask_b32_e32 v1, v3, v1, vcc
	global_store_short v[4:5], v1, off
	s_mov_b64 s[0:1], 0
	s_mov_b64 s[6:7], -1
.LBB18_1940:
	s_mov_b64 s[10:11], 0
.LBB18_1941:
	s_mov_b64 s[4:5], 0
	s_and_b64 vcc, exec, s[10:11]
	s_cbranch_vccz .LBB18_1943
; %bb.1942:
	v_mov_b32_e32 v1, 11
	v_cmp_ne_u16_sdwa s[0:1], s14, v1 src0_sel:BYTE_0 src1_sel:DWORD
	s_mov_b64 s[4:5], -1
.LBB18_1943:
	s_and_b64 vcc, exec, s[0:1]
	s_cbranch_vccnz .LBB18_1999
; %bb.1944:
	s_andn2_b64 vcc, exec, s[4:5]
	s_cbranch_vccnz .LBB18_1946
.LBB18_1945:
	v_cmp_neq_f32_e32 vcc, 0, v10
	v_cndmask_b32_e64 v1, 0, 1, vcc
	s_mov_b64 s[6:7], -1
	global_store_byte v[4:5], v1, off
.LBB18_1946:
	s_mov_b64 s[0:1], 0
.LBB18_1947:
	s_and_b64 vcc, exec, s[0:1]
	s_cbranch_vccz .LBB18_1986
; %bb.1948:
	v_mov_b32_e32 v1, 5
	v_cmp_lt_i16_sdwa s[4:5], s14, v1 src0_sel:BYTE_0 src1_sel:DWORD
	s_mov_b64 s[0:1], -1
	s_and_b64 vcc, exec, s[4:5]
	s_cbranch_vccnz .LBB18_1969
; %bb.1949:
	v_mov_b32_e32 v1, 8
	v_cmp_lt_i16_sdwa s[4:5], s14, v1 src0_sel:BYTE_0 src1_sel:DWORD
	s_and_b64 vcc, exec, s[4:5]
	s_cbranch_vccnz .LBB18_1959
; %bb.1950:
	v_mov_b32_e32 v1, 9
	v_cmp_lt_i16_sdwa s[4:5], s14, v1 src0_sel:BYTE_0 src1_sel:DWORD
	s_and_b64 vcc, exec, s[4:5]
	s_cbranch_vccnz .LBB18_1956
; %bb.1951:
	v_cmp_gt_i16_sdwa s[4:5], s14, v1 src0_sel:BYTE_0 src1_sel:DWORD
	s_and_b64 vcc, exec, s[4:5]
	s_cbranch_vccz .LBB18_1953
; %bb.1952:
	v_mov_b32_e32 v8, 0
	v_cvt_f64_f32_e32 v[6:7], v10
	v_mov_b32_e32 v9, v8
	global_store_dwordx4 v[4:5], v[6:9], off
	s_mov_b64 s[0:1], 0
.LBB18_1953:
	s_andn2_b64 vcc, exec, s[0:1]
	s_cbranch_vccnz .LBB18_1955
; %bb.1954:
	v_mov_b32_e32 v11, 0
	global_store_dwordx2 v[4:5], v[10:11], off
.LBB18_1955:
	s_mov_b64 s[0:1], 0
.LBB18_1956:
	s_andn2_b64 vcc, exec, s[0:1]
	s_cbranch_vccnz .LBB18_1958
; %bb.1957:
	v_cvt_f16_f32_e32 v1, v10
	global_store_dword v[4:5], v1, off
.LBB18_1958:
	s_mov_b64 s[0:1], 0
.LBB18_1959:
	s_andn2_b64 vcc, exec, s[0:1]
	s_cbranch_vccnz .LBB18_1968
; %bb.1960:
	v_mov_b32_e32 v1, 6
	v_cmp_lt_i16_sdwa s[4:5], s14, v1 src0_sel:BYTE_0 src1_sel:DWORD
	s_mov_b64 s[0:1], -1
	s_and_b64 vcc, exec, s[4:5]
	s_cbranch_vccnz .LBB18_1966
; %bb.1961:
	v_cmp_gt_i16_sdwa s[4:5], s14, v1 src0_sel:BYTE_0 src1_sel:DWORD
	s_and_b64 vcc, exec, s[4:5]
	s_cbranch_vccz .LBB18_1963
; %bb.1962:
	v_cvt_f64_f32_e32 v[6:7], v10
	global_store_dwordx2 v[4:5], v[6:7], off
	s_mov_b64 s[0:1], 0
.LBB18_1963:
	s_andn2_b64 vcc, exec, s[0:1]
	s_cbranch_vccnz .LBB18_1965
; %bb.1964:
	global_store_dword v[4:5], v10, off
.LBB18_1965:
	s_mov_b64 s[0:1], 0
.LBB18_1966:
	s_andn2_b64 vcc, exec, s[0:1]
	s_cbranch_vccnz .LBB18_1968
; %bb.1967:
	v_cvt_f16_f32_e32 v1, v10
	global_store_short v[4:5], v1, off
.LBB18_1968:
	s_mov_b64 s[0:1], 0
.LBB18_1969:
	s_andn2_b64 vcc, exec, s[0:1]
	s_cbranch_vccnz .LBB18_1985
; %bb.1970:
	v_mov_b32_e32 v1, 2
	v_cmp_lt_i16_sdwa s[4:5], s14, v1 src0_sel:BYTE_0 src1_sel:DWORD
	s_mov_b64 s[0:1], -1
	s_and_b64 vcc, exec, s[4:5]
	s_cbranch_vccnz .LBB18_1980
; %bb.1971:
	v_mov_b32_e32 v1, 3
	v_cmp_lt_i16_sdwa s[4:5], s14, v1 src0_sel:BYTE_0 src1_sel:DWORD
	s_and_b64 vcc, exec, s[4:5]
	s_cbranch_vccnz .LBB18_1977
; %bb.1972:
	v_cmp_gt_i16_sdwa s[4:5], s14, v1 src0_sel:BYTE_0 src1_sel:DWORD
	s_and_b64 vcc, exec, s[4:5]
	s_cbranch_vccz .LBB18_1974
; %bb.1973:
	v_trunc_f32_e32 v1, v10
	s_mov_b32 s0, 0x2f800000
	v_mul_f32_e64 v3, |v1|, s0
	v_floor_f32_e32 v3, v3
	s_mov_b32 s0, 0xcf800000
	v_cvt_u32_f32_e32 v6, v3
	v_fma_f32 v3, v3, s0, |v1|
	v_cvt_u32_f32_e32 v3, v3
	v_ashrrev_i32_e32 v1, 31, v1
	v_xor_b32_e32 v7, v6, v1
	s_mov_b64 s[0:1], 0
	v_xor_b32_e32 v3, v3, v1
	v_sub_co_u32_e32 v6, vcc, v3, v1
	v_subb_co_u32_e32 v7, vcc, v7, v1, vcc
	global_store_dwordx2 v[4:5], v[6:7], off
.LBB18_1974:
	s_andn2_b64 vcc, exec, s[0:1]
	s_cbranch_vccnz .LBB18_1976
; %bb.1975:
	v_cvt_i32_f32_e32 v1, v10
	global_store_dword v[4:5], v1, off
.LBB18_1976:
	s_mov_b64 s[0:1], 0
.LBB18_1977:
	s_andn2_b64 vcc, exec, s[0:1]
	s_cbranch_vccnz .LBB18_1979
; %bb.1978:
	v_cvt_i32_f32_e32 v1, v10
	global_store_short v[4:5], v1, off
.LBB18_1979:
	s_mov_b64 s[0:1], 0
.LBB18_1980:
	s_andn2_b64 vcc, exec, s[0:1]
	s_cbranch_vccnz .LBB18_1985
; %bb.1981:
	v_mov_b32_e32 v1, 0
	v_cmp_gt_i16_sdwa s[4:5], s14, v1 src0_sel:BYTE_0 src1_sel:DWORD
	s_mov_b64 s[0:1], -1
	s_and_b64 vcc, exec, s[4:5]
	s_cbranch_vccz .LBB18_1983
; %bb.1982:
	v_cvt_i32_f32_e32 v1, v10
	s_mov_b64 s[0:1], 0
	global_store_byte v[4:5], v1, off
.LBB18_1983:
	s_andn2_b64 vcc, exec, s[0:1]
	s_cbranch_vccnz .LBB18_1985
; %bb.1984:
	v_trunc_f32_e32 v1, v10
	s_mov_b32 s0, 0x2f800000
	v_mul_f32_e64 v3, |v1|, s0
	v_floor_f32_e32 v3, v3
	s_mov_b32 s0, 0xcf800000
	v_fma_f32 v3, v3, s0, |v1|
	v_cvt_u32_f32_e32 v3, v3
	v_ashrrev_i32_e32 v1, 31, v1
	v_xor_b32_e32 v3, v3, v1
	v_sub_u32_e32 v1, v3, v1
	global_store_byte v[4:5], v1, off
.LBB18_1985:
	s_mov_b64 s[6:7], -1
.LBB18_1986:
	s_andn2_b64 vcc, exec, s[6:7]
	s_cbranch_vccnz .LBB18_2190
; %bb.1987:
	v_mov_b32_e32 v1, s9
	v_add_co_u32_e32 v2, vcc, s8, v2
	v_addc_co_u32_e32 v3, vcc, 0, v1, vcc
	v_mov_b32_e32 v1, 11
	v_cmp_lt_i16_sdwa s[0:1], s14, v1 src0_sel:BYTE_0 src1_sel:DWORD
	s_and_b64 vcc, exec, s[0:1]
	s_cbranch_vccnz .LBB18_1994
; %bb.1988:
	v_mov_b32_e32 v1, 25
	v_cmp_gt_i16_sdwa s[0:1], s14, v1 src0_sel:BYTE_0 src1_sel:DWORD
	s_mov_b64 s[10:11], -1
	s_mov_b64 s[4:5], 0
	s_and_b64 vcc, exec, s[0:1]
	s_mov_b64 s[6:7], 0
	s_mov_b64 s[0:1], 0
	s_cbranch_vccz .LBB18_2030
; %bb.1989:
	v_mov_b32_e32 v1, 28
	v_cmp_gt_i16_sdwa s[0:1], s14, v1 src0_sel:BYTE_0 src1_sel:DWORD
	s_and_b64 vcc, exec, s[0:1]
	s_cbranch_vccz .LBB18_1995
; %bb.1990:
	v_mov_b32_e32 v1, 43
	v_cmp_gt_i16_sdwa s[0:1], s14, v1 src0_sel:BYTE_0 src1_sel:DWORD
	s_and_b64 vcc, exec, s[0:1]
	;; [unrolled: 5-line block ×3, first 2 shown]
	s_cbranch_vccz .LBB18_2002
; %bb.1992:
	v_mov_b32_e32 v1, 46
	v_cmp_eq_u16_sdwa s[6:7], s14, v1 src0_sel:BYTE_0 src1_sel:DWORD
	s_mov_b64 s[0:1], -1
	s_mov_b64 s[10:11], 0
	s_and_b64 vcc, exec, s[6:7]
	s_mov_b64 s[6:7], 0
	s_cbranch_vccz .LBB18_2003
; %bb.1993:
	v_bfe_u32 v1, v12, 16, 1
	s_movk_i32 s0, 0x7fff
	v_add3_u32 v1, v12, v1, s0
	v_lshrrev_b32_e32 v1, 16, v1
	v_mov_b32_e32 v4, 0x7fc0
	v_cmp_o_f32_e32 vcc, v12, v12
	v_cndmask_b32_e32 v1, v4, v1, vcc
	global_store_dword v[2:3], v1, off
	s_mov_b64 s[0:1], 0
	s_mov_b64 s[6:7], -1
	s_branch .LBB18_2003
.LBB18_1994:
	s_mov_b64 s[0:1], -1
	s_mov_b64 s[6:7], 0
	s_branch .LBB18_2074
.LBB18_1995:
	s_mov_b64 s[0:1], 0
	s_branch .LBB18_2013
.LBB18_1996:
	s_or_saveexec_b64 s[12:13], s[12:13]
                                        ; implicit-def: $sgpr15
	s_xor_b64 exec, exec, s[12:13]
	s_cbranch_execz .LBB18_1897
.LBB18_1997:
	s_mov_b32 s15, 0x46000000
	v_add_f32_e64 v1, |v10|, s15
	v_and_b32_e32 v1, 0xff, v1
	v_cmp_ne_u32_e32 vcc, 0, v1
	s_andn2_b64 s[10:11], s[10:11], exec
	s_and_b64 s[16:17], vcc, exec
	s_mov_b32 s15, 0
	s_or_b64 s[10:11], s[10:11], s[16:17]
	s_or_b64 exec, exec, s[12:13]
	v_mov_b32_e32 v3, s15
	s_and_saveexec_b64 s[12:13], s[10:11]
	s_cbranch_execnz .LBB18_1898
	s_branch .LBB18_1899
.LBB18_1998:
	s_mov_b64 s[0:1], 0
	s_branch .LBB18_2009
.LBB18_1999:
	s_trap 2
	s_or_b64 s[2:3], s[2:3], exec
	s_cbranch_execz .LBB18_1945
	s_branch .LBB18_1946
.LBB18_2000:
	s_or_saveexec_b64 s[10:11], s[10:11]
                                        ; implicit-def: $sgpr12
	s_xor_b64 exec, exec, s[10:11]
	s_cbranch_execz .LBB18_1910
.LBB18_2001:
	s_mov_b32 s12, 0x42800000
	v_add_f32_e64 v1, |v10|, s12
	v_and_b32_e32 v1, 0xff, v1
	v_cmp_ne_u32_e32 vcc, 0, v1
	s_andn2_b64 s[6:7], s[6:7], exec
	s_and_b64 s[16:17], vcc, exec
	s_mov_b32 s12, 0
	s_or_b64 s[6:7], s[6:7], s[16:17]
	s_or_b64 exec, exec, s[10:11]
	v_mov_b32_e32 v3, s12
	s_and_saveexec_b64 s[10:11], s[6:7]
	s_cbranch_execnz .LBB18_1911
	s_branch .LBB18_1912
.LBB18_2002:
	s_mov_b64 s[0:1], 0
.LBB18_2003:
	s_and_b64 vcc, exec, s[10:11]
	s_cbranch_vccz .LBB18_2008
; %bb.2004:
	v_mov_b32_e32 v1, 44
	v_cmp_eq_u16_sdwa s[10:11], s14, v1 src0_sel:BYTE_0 src1_sel:DWORD
	s_mov_b64 s[0:1], -1
	s_and_b64 vcc, exec, s[10:11]
	s_cbranch_vccz .LBB18_2008
; %bb.2005:
	v_bfe_u32 v1, v12, 23, 8
	s_movk_i32 s0, 0xff
	v_cmp_ne_u32_e32 vcc, s0, v1
	v_mov_b32_e32 v4, 0xff
	s_and_saveexec_b64 s[6:7], vcc
; %bb.2006:
	s_mov_b32 s0, 0x3fffff
	v_and_b32_e32 v5, 0x400000, v12
	v_and_or_b32 v1, v12, s0, v1
	v_cmp_ne_u32_e32 vcc, 0, v5
	v_cmp_ne_u32_e64 s[0:1], 0, v1
	s_and_b64 s[0:1], vcc, s[0:1]
	v_lshrrev_b32_e32 v4, 23, v12
	v_cndmask_b32_e64 v1, 0, 1, s[0:1]
	v_add_u32_e32 v4, v4, v1
; %bb.2007:
	s_or_b64 exec, exec, s[6:7]
	s_mov_b64 s[0:1], 0
	s_mov_b64 s[6:7], -1
	global_store_byte v[2:3], v4, off
.LBB18_2008:
	s_mov_b64 s[10:11], 0
.LBB18_2009:
	s_and_b64 vcc, exec, s[10:11]
	s_cbranch_vccz .LBB18_2012
; %bb.2010:
	v_mov_b32_e32 v1, 29
	v_cmp_eq_u16_sdwa s[10:11], s14, v1 src0_sel:BYTE_0 src1_sel:DWORD
	s_mov_b64 s[0:1], -1
	s_and_b64 vcc, exec, s[10:11]
	s_cbranch_vccz .LBB18_2012
; %bb.2011:
	v_trunc_f32_e32 v1, v12
	v_mul_f32_e32 v4, 0x2f800000, v1
	v_floor_f32_e32 v4, v4
	v_fmac_f32_e32 v1, 0xcf800000, v4
	v_cvt_u32_f32_e32 v5, v4
	v_cvt_u32_f32_e32 v4, v1
	s_mov_b64 s[0:1], 0
	s_mov_b64 s[6:7], -1
	s_mov_b64 s[10:11], 0
	global_store_dwordx2 v[2:3], v[4:5], off
	s_branch .LBB18_2013
.LBB18_2012:
	s_mov_b64 s[10:11], 0
.LBB18_2013:
	s_and_b64 vcc, exec, s[10:11]
	s_cbranch_vccz .LBB18_2029
; %bb.2014:
	v_mov_b32_e32 v1, 27
	v_cmp_lt_i16_sdwa s[10:11], s14, v1 src0_sel:BYTE_0 src1_sel:DWORD
	s_mov_b64 s[6:7], -1
	s_and_b64 vcc, exec, s[10:11]
	s_cbranch_vccnz .LBB18_2020
; %bb.2015:
	v_cmp_gt_i16_sdwa s[10:11], s14, v1 src0_sel:BYTE_0 src1_sel:DWORD
	v_cvt_u32_f32_e32 v1, v12
	s_and_b64 vcc, exec, s[10:11]
	s_cbranch_vccz .LBB18_2017
; %bb.2016:
	s_mov_b64 s[6:7], 0
	global_store_dword v[2:3], v1, off
.LBB18_2017:
	s_andn2_b64 vcc, exec, s[6:7]
	s_cbranch_vccnz .LBB18_2019
; %bb.2018:
	global_store_short v[2:3], v1, off
.LBB18_2019:
	s_mov_b64 s[6:7], 0
.LBB18_2020:
	s_andn2_b64 vcc, exec, s[6:7]
	s_cbranch_vccnz .LBB18_2028
; %bb.2021:
	v_and_b32_e32 v1, 0x7fffffff, v12
	s_mov_b32 s6, 0x43800000
	v_cmp_gt_u32_e32 vcc, s6, v1
	v_mov_b32_e32 v4, 0x80
	s_and_saveexec_b64 s[6:7], vcc
	s_cbranch_execz .LBB18_2027
; %bb.2022:
	s_mov_b32 s10, 0x3bffffff
	v_cmp_lt_u32_e32 vcc, s10, v1
	s_mov_b64 s[10:11], 0
                                        ; implicit-def: $vgpr1
	s_and_saveexec_b64 s[12:13], vcc
	s_xor_b64 s[12:13], exec, s[12:13]
	s_cbranch_execz .LBB18_2192
; %bb.2023:
	v_bfe_u32 v1, v12, 20, 1
	s_mov_b32 s15, 0x487ffff
	v_add3_u32 v1, v12, v1, s15
	s_mov_b64 s[10:11], exec
	v_lshrrev_b32_e32 v1, 20, v1
	s_or_saveexec_b64 s[12:13], s[12:13]
                                        ; implicit-def: $sgpr15
	s_xor_b64 exec, exec, s[12:13]
	s_cbranch_execnz .LBB18_2193
.LBB18_2024:
	s_or_b64 exec, exec, s[12:13]
	v_mov_b32_e32 v4, s15
	s_and_saveexec_b64 s[12:13], s[10:11]
.LBB18_2025:
	v_lshrrev_b32_e32 v4, 24, v12
	s_movk_i32 s10, 0x80
	v_and_or_b32 v4, v4, s10, v1
.LBB18_2026:
	s_or_b64 exec, exec, s[12:13]
.LBB18_2027:
	s_or_b64 exec, exec, s[6:7]
	global_store_byte v[2:3], v4, off
.LBB18_2028:
	s_mov_b64 s[6:7], -1
.LBB18_2029:
	s_mov_b64 s[10:11], 0
.LBB18_2030:
	s_and_b64 vcc, exec, s[10:11]
	s_cbranch_vccz .LBB18_2070
; %bb.2031:
	v_mov_b32_e32 v1, 22
	v_cmp_gt_i16_sdwa s[10:11], s14, v1 src0_sel:BYTE_0 src1_sel:DWORD
	s_mov_b64 s[4:5], -1
	s_and_b64 vcc, exec, s[10:11]
	s_cbranch_vccz .LBB18_2063
; %bb.2032:
	v_mov_b32_e32 v1, 24
	v_cmp_lt_i16_sdwa s[6:7], s14, v1 src0_sel:BYTE_0 src1_sel:DWORD
	s_and_b64 vcc, exec, s[6:7]
	s_cbranch_vccnz .LBB18_2052
; %bb.2033:
	v_cmp_gt_i16_sdwa s[6:7], s14, v1 src0_sel:BYTE_0 src1_sel:DWORD
	s_and_b64 vcc, exec, s[6:7]
	s_cbranch_vccz .LBB18_2041
; %bb.2034:
	v_and_b32_e32 v1, 0x7fffffff, v12
	s_mov_b32 s4, 0x47800000
	v_cmp_gt_u32_e32 vcc, s4, v1
	v_mov_b32_e32 v4, 0x80
	s_and_saveexec_b64 s[4:5], vcc
	s_cbranch_execz .LBB18_2040
; %bb.2035:
	s_mov_b32 s6, 0x37ffffff
	v_cmp_lt_u32_e32 vcc, s6, v1
	s_mov_b64 s[6:7], 0
                                        ; implicit-def: $vgpr1
	s_and_saveexec_b64 s[10:11], vcc
	s_xor_b64 s[10:11], exec, s[10:11]
	s_cbranch_execz .LBB18_2195
; %bb.2036:
	v_bfe_u32 v1, v12, 21, 1
	s_mov_b32 s12, 0x88fffff
	v_add3_u32 v1, v12, v1, s12
	s_mov_b64 s[6:7], exec
	v_lshrrev_b32_e32 v1, 21, v1
	s_or_saveexec_b64 s[10:11], s[10:11]
                                        ; implicit-def: $sgpr12
	s_xor_b64 exec, exec, s[10:11]
	s_cbranch_execnz .LBB18_2196
.LBB18_2037:
	s_or_b64 exec, exec, s[10:11]
	v_mov_b32_e32 v4, s12
	s_and_saveexec_b64 s[10:11], s[6:7]
.LBB18_2038:
	v_lshrrev_b32_e32 v4, 24, v12
	s_movk_i32 s6, 0x80
	v_and_or_b32 v4, v4, s6, v1
.LBB18_2039:
	s_or_b64 exec, exec, s[10:11]
.LBB18_2040:
	s_or_b64 exec, exec, s[4:5]
	s_mov_b64 s[4:5], 0
	global_store_byte v[2:3], v4, off
.LBB18_2041:
	s_and_b64 vcc, exec, s[4:5]
	s_cbranch_vccz .LBB18_2051
; %bb.2042:
	v_and_b32_e32 v4, 0x7fffffff, v12
	s_mov_b32 s4, 0x43f00000
	v_cmp_gt_u32_e32 vcc, s4, v4
                                        ; implicit-def: $vgpr1
	s_and_saveexec_b64 s[4:5], vcc
	s_xor_b64 s[4:5], exec, s[4:5]
	s_cbranch_execz .LBB18_2048
; %bb.2043:
	s_mov_b32 s6, 0x3c7fffff
	v_cmp_lt_u32_e32 vcc, s6, v4
                                        ; implicit-def: $vgpr1
	s_and_saveexec_b64 s[6:7], vcc
	s_xor_b64 s[6:7], exec, s[6:7]
; %bb.2044:
	v_bfe_u32 v1, v12, 20, 1
	s_mov_b32 s10, 0x407ffff
	v_add3_u32 v1, v12, v1, s10
	v_lshrrev_b32_e32 v4, 20, v1
	v_and_b32_e32 v1, 0xff00000, v1
	s_mov_b32 s10, 0x7f00000
	v_mov_b32_e32 v5, 0x7e
	v_cmp_ne_u32_e32 vcc, s10, v1
	v_cndmask_b32_e32 v1, v5, v4, vcc
; %bb.2045:
	s_andn2_saveexec_b64 s[6:7], s[6:7]
; %bb.2046:
	s_mov_b32 s10, 0x46800000
	v_add_f32_e64 v1, |v12|, s10
; %bb.2047:
	s_or_b64 exec, exec, s[6:7]
                                        ; implicit-def: $vgpr4
.LBB18_2048:
	s_andn2_saveexec_b64 s[4:5], s[4:5]
; %bb.2049:
	s_mov_b32 s6, 0x7f800000
	v_mov_b32_e32 v1, 0x7e
	v_mov_b32_e32 v5, 0x7f
	v_cmp_lt_u32_e32 vcc, s6, v4
	v_cndmask_b32_e32 v1, v1, v5, vcc
; %bb.2050:
	s_or_b64 exec, exec, s[4:5]
	v_lshrrev_b32_e32 v4, 24, v12
	s_movk_i32 s4, 0x80
	v_and_or_b32 v1, v4, s4, v1
	global_store_byte v[2:3], v1, off
.LBB18_2051:
	s_mov_b64 s[4:5], 0
.LBB18_2052:
	s_andn2_b64 vcc, exec, s[4:5]
	s_cbranch_vccnz .LBB18_2062
; %bb.2053:
	v_and_b32_e32 v4, 0x7fffffff, v12
	s_mov_b32 s4, 0x47800000
	v_cmp_gt_u32_e32 vcc, s4, v4
                                        ; implicit-def: $vgpr1
	s_and_saveexec_b64 s[4:5], vcc
	s_xor_b64 s[4:5], exec, s[4:5]
	s_cbranch_execz .LBB18_2059
; %bb.2054:
	s_mov_b32 s6, 0x387fffff
	v_cmp_lt_u32_e32 vcc, s6, v4
                                        ; implicit-def: $vgpr1
	s_and_saveexec_b64 s[6:7], vcc
	s_xor_b64 s[6:7], exec, s[6:7]
; %bb.2055:
	v_bfe_u32 v1, v12, 21, 1
	s_mov_b32 s10, 0x80fffff
	v_add3_u32 v1, v12, v1, s10
	v_lshrrev_b32_e32 v1, 21, v1
; %bb.2056:
	s_andn2_saveexec_b64 s[6:7], s[6:7]
; %bb.2057:
	s_mov_b32 s10, 0x43000000
	v_add_f32_e64 v1, |v12|, s10
; %bb.2058:
	s_or_b64 exec, exec, s[6:7]
                                        ; implicit-def: $vgpr4
.LBB18_2059:
	s_andn2_saveexec_b64 s[4:5], s[4:5]
; %bb.2060:
	s_mov_b32 s6, 0x7f800000
	v_mov_b32_e32 v1, 0x7c
	v_mov_b32_e32 v5, 0x7f
	v_cmp_lt_u32_e32 vcc, s6, v4
	v_cndmask_b32_e32 v1, v1, v5, vcc
; %bb.2061:
	s_or_b64 exec, exec, s[4:5]
	v_lshrrev_b32_e32 v4, 24, v12
	s_movk_i32 s4, 0x80
	v_and_or_b32 v1, v4, s4, v1
	global_store_byte v[2:3], v1, off
.LBB18_2062:
	s_mov_b64 s[4:5], 0
	s_mov_b64 s[6:7], -1
.LBB18_2063:
	s_andn2_b64 vcc, exec, s[4:5]
	s_mov_b64 s[4:5], 0
	s_cbranch_vccnz .LBB18_2070
; %bb.2064:
	v_mov_b32_e32 v1, 14
	v_cmp_gt_i16_sdwa s[4:5], s14, v1 src0_sel:BYTE_0 src1_sel:DWORD
	s_mov_b64 s[10:11], -1
	s_and_b64 vcc, exec, s[4:5]
	s_cbranch_vccz .LBB18_2068
; %bb.2065:
	v_mov_b32_e32 v1, 15
	v_cmp_eq_u16_sdwa s[4:5], s14, v1 src0_sel:BYTE_0 src1_sel:DWORD
	s_mov_b64 s[0:1], -1
	s_and_b64 vcc, exec, s[4:5]
	s_cbranch_vccz .LBB18_2067
; %bb.2066:
	v_bfe_u32 v1, v12, 16, 1
	s_movk_i32 s0, 0x7fff
	v_add3_u32 v1, v12, v1, s0
	v_lshrrev_b32_e32 v1, 16, v1
	v_mov_b32_e32 v4, 0x7fc0
	v_cmp_o_f32_e32 vcc, v12, v12
	v_cndmask_b32_e32 v1, v4, v1, vcc
	global_store_short v[2:3], v1, off
	s_mov_b64 s[0:1], 0
	s_mov_b64 s[6:7], -1
.LBB18_2067:
	s_mov_b64 s[10:11], 0
.LBB18_2068:
	s_mov_b64 s[4:5], 0
	s_and_b64 vcc, exec, s[10:11]
	s_cbranch_vccz .LBB18_2070
; %bb.2069:
	v_mov_b32_e32 v1, 11
	v_cmp_ne_u16_sdwa s[0:1], s14, v1 src0_sel:BYTE_0 src1_sel:DWORD
	s_mov_b64 s[4:5], -1
.LBB18_2070:
	s_and_b64 vcc, exec, s[0:1]
	s_cbranch_vccnz .LBB18_2194
; %bb.2071:
	s_andn2_b64 vcc, exec, s[4:5]
	s_cbranch_vccnz .LBB18_2073
.LBB18_2072:
	v_cmp_neq_f32_e32 vcc, 0, v12
	v_cndmask_b32_e64 v1, 0, 1, vcc
	s_mov_b64 s[6:7], -1
	global_store_byte v[2:3], v1, off
.LBB18_2073:
	s_mov_b64 s[0:1], 0
.LBB18_2074:
	s_and_b64 vcc, exec, s[0:1]
	s_cbranch_vccz .LBB18_2113
; %bb.2075:
	v_mov_b32_e32 v1, 5
	v_cmp_lt_i16_sdwa s[4:5], s14, v1 src0_sel:BYTE_0 src1_sel:DWORD
	s_mov_b64 s[0:1], -1
	s_and_b64 vcc, exec, s[4:5]
	s_cbranch_vccnz .LBB18_2096
; %bb.2076:
	v_mov_b32_e32 v1, 8
	v_cmp_lt_i16_sdwa s[4:5], s14, v1 src0_sel:BYTE_0 src1_sel:DWORD
	s_and_b64 vcc, exec, s[4:5]
	s_cbranch_vccnz .LBB18_2086
; %bb.2077:
	v_mov_b32_e32 v1, 9
	v_cmp_lt_i16_sdwa s[4:5], s14, v1 src0_sel:BYTE_0 src1_sel:DWORD
	s_and_b64 vcc, exec, s[4:5]
	s_cbranch_vccnz .LBB18_2083
; %bb.2078:
	v_cmp_gt_i16_sdwa s[4:5], s14, v1 src0_sel:BYTE_0 src1_sel:DWORD
	s_and_b64 vcc, exec, s[4:5]
	s_cbranch_vccz .LBB18_2080
; %bb.2079:
	v_mov_b32_e32 v6, 0
	v_cvt_f64_f32_e32 v[4:5], v12
	v_mov_b32_e32 v7, v6
	global_store_dwordx4 v[2:3], v[4:7], off
	s_mov_b64 s[0:1], 0
.LBB18_2080:
	s_andn2_b64 vcc, exec, s[0:1]
	s_cbranch_vccnz .LBB18_2082
; %bb.2081:
	v_mov_b32_e32 v13, 0
	global_store_dwordx2 v[2:3], v[12:13], off
.LBB18_2082:
	s_mov_b64 s[0:1], 0
.LBB18_2083:
	s_andn2_b64 vcc, exec, s[0:1]
	s_cbranch_vccnz .LBB18_2085
; %bb.2084:
	v_cvt_f16_f32_e32 v1, v12
	global_store_dword v[2:3], v1, off
.LBB18_2085:
	s_mov_b64 s[0:1], 0
.LBB18_2086:
	s_andn2_b64 vcc, exec, s[0:1]
	s_cbranch_vccnz .LBB18_2095
; %bb.2087:
	v_mov_b32_e32 v1, 6
	v_cmp_lt_i16_sdwa s[4:5], s14, v1 src0_sel:BYTE_0 src1_sel:DWORD
	s_mov_b64 s[0:1], -1
	s_and_b64 vcc, exec, s[4:5]
	s_cbranch_vccnz .LBB18_2093
; %bb.2088:
	v_cmp_gt_i16_sdwa s[4:5], s14, v1 src0_sel:BYTE_0 src1_sel:DWORD
	s_and_b64 vcc, exec, s[4:5]
	s_cbranch_vccz .LBB18_2090
; %bb.2089:
	v_cvt_f64_f32_e32 v[4:5], v12
	global_store_dwordx2 v[2:3], v[4:5], off
	s_mov_b64 s[0:1], 0
.LBB18_2090:
	s_andn2_b64 vcc, exec, s[0:1]
	s_cbranch_vccnz .LBB18_2092
; %bb.2091:
	global_store_dword v[2:3], v12, off
.LBB18_2092:
	s_mov_b64 s[0:1], 0
.LBB18_2093:
	s_andn2_b64 vcc, exec, s[0:1]
	s_cbranch_vccnz .LBB18_2095
; %bb.2094:
	v_cvt_f16_f32_e32 v1, v12
	global_store_short v[2:3], v1, off
.LBB18_2095:
	s_mov_b64 s[0:1], 0
.LBB18_2096:
	s_andn2_b64 vcc, exec, s[0:1]
	s_cbranch_vccnz .LBB18_2112
; %bb.2097:
	v_mov_b32_e32 v1, 2
	v_cmp_lt_i16_sdwa s[4:5], s14, v1 src0_sel:BYTE_0 src1_sel:DWORD
	s_mov_b64 s[0:1], -1
	s_and_b64 vcc, exec, s[4:5]
	s_cbranch_vccnz .LBB18_2107
; %bb.2098:
	v_mov_b32_e32 v1, 3
	v_cmp_lt_i16_sdwa s[4:5], s14, v1 src0_sel:BYTE_0 src1_sel:DWORD
	s_and_b64 vcc, exec, s[4:5]
	s_cbranch_vccnz .LBB18_2104
; %bb.2099:
	v_cmp_gt_i16_sdwa s[4:5], s14, v1 src0_sel:BYTE_0 src1_sel:DWORD
	s_and_b64 vcc, exec, s[4:5]
	s_cbranch_vccz .LBB18_2101
; %bb.2100:
	v_trunc_f32_e32 v1, v12
	s_mov_b32 s0, 0x2f800000
	v_mul_f32_e64 v4, |v1|, s0
	v_floor_f32_e32 v4, v4
	s_mov_b32 s0, 0xcf800000
	v_cvt_u32_f32_e32 v5, v4
	v_fma_f32 v4, v4, s0, |v1|
	v_cvt_u32_f32_e32 v4, v4
	v_ashrrev_i32_e32 v1, 31, v1
	v_xor_b32_e32 v5, v5, v1
	s_mov_b64 s[0:1], 0
	v_xor_b32_e32 v4, v4, v1
	v_sub_co_u32_e32 v4, vcc, v4, v1
	v_subb_co_u32_e32 v5, vcc, v5, v1, vcc
	global_store_dwordx2 v[2:3], v[4:5], off
.LBB18_2101:
	s_andn2_b64 vcc, exec, s[0:1]
	s_cbranch_vccnz .LBB18_2103
; %bb.2102:
	v_cvt_i32_f32_e32 v1, v12
	global_store_dword v[2:3], v1, off
.LBB18_2103:
	s_mov_b64 s[0:1], 0
.LBB18_2104:
	s_andn2_b64 vcc, exec, s[0:1]
	s_cbranch_vccnz .LBB18_2106
; %bb.2105:
	v_cvt_i32_f32_e32 v1, v12
	global_store_short v[2:3], v1, off
.LBB18_2106:
	s_mov_b64 s[0:1], 0
.LBB18_2107:
	s_andn2_b64 vcc, exec, s[0:1]
	s_cbranch_vccnz .LBB18_2112
; %bb.2108:
	v_mov_b32_e32 v1, 0
	v_cmp_gt_i16_sdwa s[4:5], s14, v1 src0_sel:BYTE_0 src1_sel:DWORD
	s_mov_b64 s[0:1], -1
	s_and_b64 vcc, exec, s[4:5]
	s_cbranch_vccz .LBB18_2110
; %bb.2109:
	v_cvt_i32_f32_e32 v1, v12
	s_mov_b64 s[0:1], 0
	global_store_byte v[2:3], v1, off
.LBB18_2110:
	s_andn2_b64 vcc, exec, s[0:1]
	s_cbranch_vccnz .LBB18_2112
; %bb.2111:
	v_trunc_f32_e32 v1, v12
	s_mov_b32 s0, 0x2f800000
	v_mul_f32_e64 v4, |v1|, s0
	v_floor_f32_e32 v4, v4
	s_mov_b32 s0, 0xcf800000
	v_fma_f32 v4, v4, s0, |v1|
	v_cvt_u32_f32_e32 v4, v4
	v_ashrrev_i32_e32 v1, 31, v1
	v_xor_b32_e32 v4, v4, v1
	v_sub_u32_e32 v1, v4, v1
	global_store_byte v[2:3], v1, off
.LBB18_2112:
	s_mov_b64 s[6:7], -1
.LBB18_2113:
	s_andn2_b64 vcc, exec, s[6:7]
	s_cbranch_vccnz .LBB18_2190
; %bb.2114:
	v_mov_b32_e32 v1, 0xff
	v_and_b32_e32 v2, s14, v1
	v_mov_b32_e32 v1, s9
	v_add_co_u32_e32 v0, vcc, s8, v0
	v_addc_co_u32_e32 v1, vcc, 0, v1, vcc
	v_cmp_gt_i16_e32 vcc, 11, v2
	s_cbranch_vccnz .LBB18_2191
; %bb.2115:
	v_cmp_lt_i16_e32 vcc, 25, v2
	s_mov_b64 s[6:7], -1
	s_mov_b64 s[4:5], 0
	s_mov_b64 s[0:1], 0
	s_cbranch_vccz .LBB18_2148
; %bb.2116:
	v_cmp_lt_i16_e32 vcc, 28, v2
	s_cbranch_vccz .LBB18_2132
; %bb.2117:
	v_cmp_lt_i16_e32 vcc, 43, v2
	;; [unrolled: 3-line block ×3, first 2 shown]
	s_cbranch_vccz .LBB18_2122
; %bb.2119:
	v_cmp_eq_u16_e32 vcc, 46, v2
	s_mov_b64 s[0:1], -1
	s_cbranch_vccz .LBB18_2121
; %bb.2120:
	v_bfe_u32 v3, v14, 16, 1
	s_movk_i32 s0, 0x7fff
	v_add3_u32 v3, v14, v3, s0
	v_lshrrev_b32_e32 v3, 16, v3
	v_mov_b32_e32 v4, 0x7fc0
	v_cmp_o_f32_e32 vcc, v14, v14
	v_cndmask_b32_e32 v3, v4, v3, vcc
	global_store_dword v[0:1], v3, off
	s_mov_b64 s[0:1], 0
.LBB18_2121:
	s_mov_b64 s[6:7], 0
.LBB18_2122:
	s_and_b64 vcc, exec, s[6:7]
	s_cbranch_vccz .LBB18_2127
; %bb.2123:
	v_cmp_eq_u16_e32 vcc, 44, v2
	s_mov_b64 s[0:1], -1
	s_cbranch_vccz .LBB18_2127
; %bb.2124:
	v_bfe_u32 v3, v14, 23, 8
	s_movk_i32 s0, 0xff
	v_cmp_ne_u32_e32 vcc, s0, v3
	v_mov_b32_e32 v4, 0xff
	s_and_saveexec_b64 s[6:7], vcc
; %bb.2125:
	s_mov_b32 s0, 0x3fffff
	v_and_b32_e32 v5, 0x400000, v14
	v_and_or_b32 v3, v14, s0, v3
	v_cmp_ne_u32_e32 vcc, 0, v5
	v_cmp_ne_u32_e64 s[0:1], 0, v3
	s_and_b64 s[0:1], vcc, s[0:1]
	v_lshrrev_b32_e32 v4, 23, v14
	v_cndmask_b32_e64 v3, 0, 1, s[0:1]
	v_add_u32_e32 v4, v4, v3
; %bb.2126:
	s_or_b64 exec, exec, s[6:7]
	s_mov_b64 s[0:1], 0
	global_store_byte v[0:1], v4, off
.LBB18_2127:
	s_mov_b64 s[6:7], 0
.LBB18_2128:
	s_and_b64 vcc, exec, s[6:7]
	s_cbranch_vccz .LBB18_2131
; %bb.2129:
	v_cmp_eq_u16_e32 vcc, 29, v2
	s_mov_b64 s[0:1], -1
	s_cbranch_vccz .LBB18_2131
; %bb.2130:
	v_trunc_f32_e32 v3, v14
	v_mul_f32_e32 v4, 0x2f800000, v3
	v_floor_f32_e32 v4, v4
	v_fmac_f32_e32 v3, 0xcf800000, v4
	v_cvt_u32_f32_e32 v5, v4
	v_cvt_u32_f32_e32 v4, v3
	s_mov_b64 s[0:1], 0
	global_store_dwordx2 v[0:1], v[4:5], off
.LBB18_2131:
	s_mov_b64 s[6:7], 0
.LBB18_2132:
	s_and_b64 vcc, exec, s[6:7]
	s_cbranch_vccz .LBB18_2147
; %bb.2133:
	v_cmp_gt_i16_e32 vcc, 27, v2
	s_mov_b64 s[6:7], -1
	s_cbranch_vccnz .LBB18_2139
; %bb.2134:
	v_cmp_lt_i16_e32 vcc, 27, v2
	s_cbranch_vccz .LBB18_2136
; %bb.2135:
	v_cvt_u32_f32_e32 v3, v14
	s_mov_b64 s[6:7], 0
	global_store_dword v[0:1], v3, off
.LBB18_2136:
	s_andn2_b64 vcc, exec, s[6:7]
	s_cbranch_vccnz .LBB18_2138
; %bb.2137:
	v_cvt_u32_f32_e32 v3, v14
	global_store_short v[0:1], v3, off
.LBB18_2138:
	s_mov_b64 s[6:7], 0
.LBB18_2139:
	s_andn2_b64 vcc, exec, s[6:7]
	s_cbranch_vccnz .LBB18_2147
; %bb.2140:
	v_and_b32_e32 v3, 0x7fffffff, v14
	s_mov_b32 s6, 0x43800000
	v_cmp_gt_u32_e32 vcc, s6, v3
	v_mov_b32_e32 v4, 0x80
	s_and_saveexec_b64 s[6:7], vcc
	s_cbranch_execz .LBB18_2146
; %bb.2141:
	s_mov_b32 s8, 0x3bffffff
	v_cmp_lt_u32_e32 vcc, s8, v3
	s_mov_b64 s[8:9], 0
                                        ; implicit-def: $vgpr3
	s_and_saveexec_b64 s[10:11], vcc
	s_xor_b64 s[10:11], exec, s[10:11]
	s_cbranch_execz .LBB18_2197
; %bb.2142:
	v_bfe_u32 v3, v14, 20, 1
	s_mov_b32 s12, 0x487ffff
	v_add3_u32 v3, v14, v3, s12
	s_mov_b64 s[8:9], exec
	v_lshrrev_b32_e32 v3, 20, v3
	s_or_saveexec_b64 s[10:11], s[10:11]
                                        ; implicit-def: $sgpr12
	s_xor_b64 exec, exec, s[10:11]
	s_cbranch_execnz .LBB18_2198
.LBB18_2143:
	s_or_b64 exec, exec, s[10:11]
	v_mov_b32_e32 v4, s12
	s_and_saveexec_b64 s[10:11], s[8:9]
.LBB18_2144:
	v_lshrrev_b32_e32 v4, 24, v14
	s_movk_i32 s8, 0x80
	v_and_or_b32 v4, v4, s8, v3
.LBB18_2145:
	s_or_b64 exec, exec, s[10:11]
.LBB18_2146:
	s_or_b64 exec, exec, s[6:7]
	global_store_byte v[0:1], v4, off
.LBB18_2147:
	s_mov_b64 s[6:7], 0
.LBB18_2148:
	s_and_b64 vcc, exec, s[6:7]
	s_cbranch_vccz .LBB18_2188
; %bb.2149:
	v_cmp_lt_i16_e32 vcc, 22, v2
	s_mov_b64 s[4:5], -1
	s_cbranch_vccz .LBB18_2181
; %bb.2150:
	v_cmp_gt_i16_e32 vcc, 24, v2
	s_cbranch_vccnz .LBB18_2170
; %bb.2151:
	v_cmp_lt_i16_e32 vcc, 24, v2
	s_cbranch_vccz .LBB18_2159
; %bb.2152:
	v_and_b32_e32 v3, 0x7fffffff, v14
	s_mov_b32 s4, 0x47800000
	v_cmp_gt_u32_e32 vcc, s4, v3
	v_mov_b32_e32 v4, 0x80
	s_and_saveexec_b64 s[4:5], vcc
	s_cbranch_execz .LBB18_2158
; %bb.2153:
	s_mov_b32 s6, 0x37ffffff
	v_cmp_lt_u32_e32 vcc, s6, v3
	s_mov_b64 s[6:7], 0
                                        ; implicit-def: $vgpr3
	s_and_saveexec_b64 s[8:9], vcc
	s_xor_b64 s[8:9], exec, s[8:9]
	s_cbranch_execz .LBB18_2200
; %bb.2154:
	v_bfe_u32 v3, v14, 21, 1
	s_mov_b32 s10, 0x88fffff
	v_add3_u32 v3, v14, v3, s10
	s_mov_b64 s[6:7], exec
	v_lshrrev_b32_e32 v3, 21, v3
	s_or_saveexec_b64 s[8:9], s[8:9]
                                        ; implicit-def: $sgpr10
	s_xor_b64 exec, exec, s[8:9]
	s_cbranch_execnz .LBB18_2201
.LBB18_2155:
	s_or_b64 exec, exec, s[8:9]
	v_mov_b32_e32 v4, s10
	s_and_saveexec_b64 s[8:9], s[6:7]
.LBB18_2156:
	v_lshrrev_b32_e32 v4, 24, v14
	s_movk_i32 s6, 0x80
	v_and_or_b32 v4, v4, s6, v3
.LBB18_2157:
	s_or_b64 exec, exec, s[8:9]
.LBB18_2158:
	s_or_b64 exec, exec, s[4:5]
	s_mov_b64 s[4:5], 0
	global_store_byte v[0:1], v4, off
.LBB18_2159:
	s_and_b64 vcc, exec, s[4:5]
	s_cbranch_vccz .LBB18_2169
; %bb.2160:
	v_and_b32_e32 v4, 0x7fffffff, v14
	s_mov_b32 s4, 0x43f00000
	v_cmp_gt_u32_e32 vcc, s4, v4
                                        ; implicit-def: $vgpr3
	s_and_saveexec_b64 s[4:5], vcc
	s_xor_b64 s[4:5], exec, s[4:5]
	s_cbranch_execz .LBB18_2166
; %bb.2161:
	s_mov_b32 s6, 0x3c7fffff
	v_cmp_lt_u32_e32 vcc, s6, v4
                                        ; implicit-def: $vgpr3
	s_and_saveexec_b64 s[6:7], vcc
	s_xor_b64 s[6:7], exec, s[6:7]
; %bb.2162:
	v_bfe_u32 v3, v14, 20, 1
	s_mov_b32 s8, 0x407ffff
	v_add3_u32 v3, v14, v3, s8
	v_lshrrev_b32_e32 v4, 20, v3
	v_and_b32_e32 v3, 0xff00000, v3
	s_mov_b32 s8, 0x7f00000
	v_mov_b32_e32 v5, 0x7e
	v_cmp_ne_u32_e32 vcc, s8, v3
	v_cndmask_b32_e32 v3, v5, v4, vcc
; %bb.2163:
	s_andn2_saveexec_b64 s[6:7], s[6:7]
; %bb.2164:
	s_mov_b32 s8, 0x46800000
	v_add_f32_e64 v3, |v14|, s8
; %bb.2165:
	s_or_b64 exec, exec, s[6:7]
                                        ; implicit-def: $vgpr4
.LBB18_2166:
	s_andn2_saveexec_b64 s[4:5], s[4:5]
; %bb.2167:
	s_mov_b32 s6, 0x7f800000
	v_mov_b32_e32 v3, 0x7e
	v_mov_b32_e32 v5, 0x7f
	v_cmp_lt_u32_e32 vcc, s6, v4
	v_cndmask_b32_e32 v3, v3, v5, vcc
; %bb.2168:
	s_or_b64 exec, exec, s[4:5]
	v_lshrrev_b32_e32 v4, 24, v14
	s_movk_i32 s4, 0x80
	v_and_or_b32 v3, v4, s4, v3
	global_store_byte v[0:1], v3, off
.LBB18_2169:
	s_mov_b64 s[4:5], 0
.LBB18_2170:
	s_andn2_b64 vcc, exec, s[4:5]
	s_cbranch_vccnz .LBB18_2180
; %bb.2171:
	v_and_b32_e32 v4, 0x7fffffff, v14
	s_mov_b32 s4, 0x47800000
	v_cmp_gt_u32_e32 vcc, s4, v4
                                        ; implicit-def: $vgpr3
	s_and_saveexec_b64 s[4:5], vcc
	s_xor_b64 s[4:5], exec, s[4:5]
	s_cbranch_execz .LBB18_2177
; %bb.2172:
	s_mov_b32 s6, 0x387fffff
	v_cmp_lt_u32_e32 vcc, s6, v4
                                        ; implicit-def: $vgpr3
	s_and_saveexec_b64 s[6:7], vcc
	s_xor_b64 s[6:7], exec, s[6:7]
; %bb.2173:
	v_bfe_u32 v3, v14, 21, 1
	s_mov_b32 s8, 0x80fffff
	v_add3_u32 v3, v14, v3, s8
	v_lshrrev_b32_e32 v3, 21, v3
; %bb.2174:
	s_andn2_saveexec_b64 s[6:7], s[6:7]
; %bb.2175:
	s_mov_b32 s8, 0x43000000
	v_add_f32_e64 v3, |v14|, s8
; %bb.2176:
	s_or_b64 exec, exec, s[6:7]
                                        ; implicit-def: $vgpr4
.LBB18_2177:
	s_andn2_saveexec_b64 s[4:5], s[4:5]
; %bb.2178:
	s_mov_b32 s6, 0x7f800000
	v_mov_b32_e32 v3, 0x7c
	v_mov_b32_e32 v5, 0x7f
	v_cmp_lt_u32_e32 vcc, s6, v4
	v_cndmask_b32_e32 v3, v3, v5, vcc
; %bb.2179:
	s_or_b64 exec, exec, s[4:5]
	v_lshrrev_b32_e32 v4, 24, v14
	s_movk_i32 s4, 0x80
	v_and_or_b32 v3, v4, s4, v3
	global_store_byte v[0:1], v3, off
.LBB18_2180:
	s_mov_b64 s[4:5], 0
.LBB18_2181:
	s_andn2_b64 vcc, exec, s[4:5]
	s_mov_b64 s[4:5], 0
	s_cbranch_vccnz .LBB18_2188
; %bb.2182:
	v_cmp_lt_i16_e32 vcc, 14, v2
	s_mov_b64 s[6:7], -1
	s_cbranch_vccz .LBB18_2186
; %bb.2183:
	v_cmp_eq_u16_e32 vcc, 15, v2
	s_mov_b64 s[0:1], -1
	s_cbranch_vccz .LBB18_2185
; %bb.2184:
	v_bfe_u32 v3, v14, 16, 1
	s_movk_i32 s0, 0x7fff
	v_add3_u32 v3, v14, v3, s0
	v_lshrrev_b32_e32 v3, 16, v3
	v_mov_b32_e32 v4, 0x7fc0
	v_cmp_o_f32_e32 vcc, v14, v14
	v_cndmask_b32_e32 v3, v4, v3, vcc
	global_store_short v[0:1], v3, off
	s_mov_b64 s[0:1], 0
.LBB18_2185:
	s_mov_b64 s[6:7], 0
.LBB18_2186:
	s_and_b64 vcc, exec, s[6:7]
	s_cbranch_vccz .LBB18_2188
; %bb.2187:
	v_cmp_ne_u16_e64 s[0:1], 11, v2
	s_mov_b64 s[4:5], -1
.LBB18_2188:
	s_and_b64 vcc, exec, s[0:1]
	s_cbranch_vccnz .LBB18_2199
.LBB18_2189:
	s_mov_b64 s[0:1], 0
	s_branch .LBB18_1700
.LBB18_2190:
	s_mov_b64 s[0:1], 0
                                        ; implicit-def: $vgpr0_vgpr1
                                        ; implicit-def: $vgpr2
	s_branch .LBB18_1699
.LBB18_2191:
	s_mov_b64 s[4:5], 0
	s_mov_b64 s[0:1], -1
	s_branch .LBB18_1700
.LBB18_2192:
	s_or_saveexec_b64 s[12:13], s[12:13]
                                        ; implicit-def: $sgpr15
	s_xor_b64 exec, exec, s[12:13]
	s_cbranch_execz .LBB18_2024
.LBB18_2193:
	s_mov_b32 s15, 0x46000000
	v_add_f32_e64 v1, |v12|, s15
	v_and_b32_e32 v1, 0xff, v1
	v_cmp_ne_u32_e32 vcc, 0, v1
	s_andn2_b64 s[10:11], s[10:11], exec
	s_and_b64 s[16:17], vcc, exec
	s_mov_b32 s15, 0
	s_or_b64 s[10:11], s[10:11], s[16:17]
	s_or_b64 exec, exec, s[12:13]
	v_mov_b32_e32 v4, s15
	s_and_saveexec_b64 s[12:13], s[10:11]
	s_cbranch_execnz .LBB18_2025
	s_branch .LBB18_2026
.LBB18_2194:
	s_trap 2
	s_or_b64 s[2:3], s[2:3], exec
	s_cbranch_execz .LBB18_2072
	s_branch .LBB18_2073
.LBB18_2195:
	s_or_saveexec_b64 s[10:11], s[10:11]
                                        ; implicit-def: $sgpr12
	s_xor_b64 exec, exec, s[10:11]
	s_cbranch_execz .LBB18_2037
.LBB18_2196:
	s_mov_b32 s12, 0x42800000
	v_add_f32_e64 v1, |v12|, s12
	v_and_b32_e32 v1, 0xff, v1
	v_cmp_ne_u32_e32 vcc, 0, v1
	s_andn2_b64 s[6:7], s[6:7], exec
	s_and_b64 s[16:17], vcc, exec
	s_mov_b32 s12, 0
	s_or_b64 s[6:7], s[6:7], s[16:17]
	s_or_b64 exec, exec, s[10:11]
	v_mov_b32_e32 v4, s12
	s_and_saveexec_b64 s[10:11], s[6:7]
	s_cbranch_execnz .LBB18_2038
	s_branch .LBB18_2039
.LBB18_2197:
	s_or_saveexec_b64 s[10:11], s[10:11]
                                        ; implicit-def: $sgpr12
	s_xor_b64 exec, exec, s[10:11]
	s_cbranch_execz .LBB18_2143
.LBB18_2198:
	s_mov_b32 s12, 0x46000000
	v_add_f32_e64 v3, |v14|, s12
	v_and_b32_e32 v3, 0xff, v3
	v_cmp_ne_u32_e32 vcc, 0, v3
	s_andn2_b64 s[8:9], s[8:9], exec
	s_and_b64 s[14:15], vcc, exec
	s_mov_b32 s12, 0
	s_or_b64 s[8:9], s[8:9], s[14:15]
	s_or_b64 exec, exec, s[10:11]
	v_mov_b32_e32 v4, s12
	s_and_saveexec_b64 s[10:11], s[8:9]
	s_cbranch_execnz .LBB18_2144
	s_branch .LBB18_2145
.LBB18_2199:
	s_mov_b64 s[4:5], 0
	s_or_b64 s[2:3], s[2:3], exec
	s_trap 2
	s_branch .LBB18_2189
.LBB18_2200:
	s_or_saveexec_b64 s[8:9], s[8:9]
                                        ; implicit-def: $sgpr10
	s_xor_b64 exec, exec, s[8:9]
	s_cbranch_execz .LBB18_2155
.LBB18_2201:
	s_mov_b32 s10, 0x42800000
	v_add_f32_e64 v3, |v14|, s10
	v_and_b32_e32 v3, 0xff, v3
	v_cmp_ne_u32_e32 vcc, 0, v3
	s_andn2_b64 s[6:7], s[6:7], exec
	s_and_b64 s[12:13], vcc, exec
	s_mov_b32 s10, 0
	s_or_b64 s[6:7], s[6:7], s[12:13]
	s_or_b64 exec, exec, s[8:9]
	v_mov_b32_e32 v4, s10
	s_and_saveexec_b64 s[8:9], s[6:7]
	s_cbranch_execnz .LBB18_2156
	s_branch .LBB18_2157
	.section	.rodata,"a",@progbits
	.p2align	6, 0x0
	.amdhsa_kernel _ZN2at6native32elementwise_kernel_manual_unrollILi128ELi4EZNS0_15gpu_kernel_implIZZZNS0_12_GLOBAL__N_130modified_bessel_i0_kernel_cudaERNS_18TensorIteratorBaseEENKUlvE_clEvENKUlvE0_clEvEUlfE_EEvS5_RKT_EUlibE0_EEviT1_
		.amdhsa_group_segment_fixed_size 0
		.amdhsa_private_segment_fixed_size 0
		.amdhsa_kernarg_size 360
		.amdhsa_user_sgpr_count 6
		.amdhsa_user_sgpr_private_segment_buffer 1
		.amdhsa_user_sgpr_dispatch_ptr 0
		.amdhsa_user_sgpr_queue_ptr 0
		.amdhsa_user_sgpr_kernarg_segment_ptr 1
		.amdhsa_user_sgpr_dispatch_id 0
		.amdhsa_user_sgpr_flat_scratch_init 0
		.amdhsa_user_sgpr_kernarg_preload_length 0
		.amdhsa_user_sgpr_kernarg_preload_offset 0
		.amdhsa_user_sgpr_private_segment_size 0
		.amdhsa_uses_dynamic_stack 0
		.amdhsa_system_sgpr_private_segment_wavefront_offset 0
		.amdhsa_system_sgpr_workgroup_id_x 1
		.amdhsa_system_sgpr_workgroup_id_y 0
		.amdhsa_system_sgpr_workgroup_id_z 0
		.amdhsa_system_sgpr_workgroup_info 0
		.amdhsa_system_vgpr_workitem_id 0
		.amdhsa_next_free_vgpr 20
		.amdhsa_next_free_sgpr 76
		.amdhsa_accum_offset 20
		.amdhsa_reserve_vcc 1
		.amdhsa_reserve_flat_scratch 0
		.amdhsa_float_round_mode_32 0
		.amdhsa_float_round_mode_16_64 0
		.amdhsa_float_denorm_mode_32 3
		.amdhsa_float_denorm_mode_16_64 3
		.amdhsa_dx10_clamp 1
		.amdhsa_ieee_mode 1
		.amdhsa_fp16_overflow 0
		.amdhsa_tg_split 0
		.amdhsa_exception_fp_ieee_invalid_op 0
		.amdhsa_exception_fp_denorm_src 0
		.amdhsa_exception_fp_ieee_div_zero 0
		.amdhsa_exception_fp_ieee_overflow 0
		.amdhsa_exception_fp_ieee_underflow 0
		.amdhsa_exception_fp_ieee_inexact 0
		.amdhsa_exception_int_div_zero 0
	.end_amdhsa_kernel
	.section	.text._ZN2at6native32elementwise_kernel_manual_unrollILi128ELi4EZNS0_15gpu_kernel_implIZZZNS0_12_GLOBAL__N_130modified_bessel_i0_kernel_cudaERNS_18TensorIteratorBaseEENKUlvE_clEvENKUlvE0_clEvEUlfE_EEvS5_RKT_EUlibE0_EEviT1_,"axG",@progbits,_ZN2at6native32elementwise_kernel_manual_unrollILi128ELi4EZNS0_15gpu_kernel_implIZZZNS0_12_GLOBAL__N_130modified_bessel_i0_kernel_cudaERNS_18TensorIteratorBaseEENKUlvE_clEvENKUlvE0_clEvEUlfE_EEvS5_RKT_EUlibE0_EEviT1_,comdat
.Lfunc_end18:
	.size	_ZN2at6native32elementwise_kernel_manual_unrollILi128ELi4EZNS0_15gpu_kernel_implIZZZNS0_12_GLOBAL__N_130modified_bessel_i0_kernel_cudaERNS_18TensorIteratorBaseEENKUlvE_clEvENKUlvE0_clEvEUlfE_EEvS5_RKT_EUlibE0_EEviT1_, .Lfunc_end18-_ZN2at6native32elementwise_kernel_manual_unrollILi128ELi4EZNS0_15gpu_kernel_implIZZZNS0_12_GLOBAL__N_130modified_bessel_i0_kernel_cudaERNS_18TensorIteratorBaseEENKUlvE_clEvENKUlvE0_clEvEUlfE_EEvS5_RKT_EUlibE0_EEviT1_
                                        ; -- End function
	.section	.AMDGPU.csdata,"",@progbits
; Kernel info:
; codeLenInByte = 52200
; NumSgprs: 80
; NumVgprs: 20
; NumAgprs: 0
; TotalNumVgprs: 20
; ScratchSize: 0
; MemoryBound: 1
; FloatMode: 240
; IeeeMode: 1
; LDSByteSize: 0 bytes/workgroup (compile time only)
; SGPRBlocks: 9
; VGPRBlocks: 2
; NumSGPRsForWavesPerEU: 80
; NumVGPRsForWavesPerEU: 20
; AccumOffset: 20
; Occupancy: 8
; WaveLimiterHint : 1
; COMPUTE_PGM_RSRC2:SCRATCH_EN: 0
; COMPUTE_PGM_RSRC2:USER_SGPR: 6
; COMPUTE_PGM_RSRC2:TRAP_HANDLER: 0
; COMPUTE_PGM_RSRC2:TGID_X_EN: 1
; COMPUTE_PGM_RSRC2:TGID_Y_EN: 0
; COMPUTE_PGM_RSRC2:TGID_Z_EN: 0
; COMPUTE_PGM_RSRC2:TIDIG_COMP_CNT: 0
; COMPUTE_PGM_RSRC3_GFX90A:ACCUM_OFFSET: 4
; COMPUTE_PGM_RSRC3_GFX90A:TG_SPLIT: 0
	.text
	.p2alignl 6, 3212836864
	.fill 256, 4, 3212836864
	.type	__hip_cuid_21f942dea29d12ea,@object ; @__hip_cuid_21f942dea29d12ea
	.section	.bss,"aw",@nobits
	.globl	__hip_cuid_21f942dea29d12ea
__hip_cuid_21f942dea29d12ea:
	.byte	0                               ; 0x0
	.size	__hip_cuid_21f942dea29d12ea, 1

	.ident	"AMD clang version 19.0.0git (https://github.com/RadeonOpenCompute/llvm-project roc-6.4.0 25133 c7fe45cf4b819c5991fe208aaa96edf142730f1d)"
	.section	".note.GNU-stack","",@progbits
	.addrsig
	.addrsig_sym __hip_cuid_21f942dea29d12ea
	.amdgpu_metadata
---
amdhsa.kernels:
  - .agpr_count:     0
    .args:
      - .offset:         0
        .size:           4
        .value_kind:     by_value
      - .offset:         4
        .size:           1
        .value_kind:     by_value
      - .offset:         8
        .size:           16
        .value_kind:     by_value
    .group_segment_fixed_size: 0
    .kernarg_segment_align: 8
    .kernarg_segment_size: 24
    .language:       OpenCL C
    .language_version:
      - 2
      - 0
    .max_flat_workgroup_size: 256
    .name:           _ZN2at6native29vectorized_elementwise_kernelILi16EZZZNS0_12_GLOBAL__N_130modified_bessel_i0_kernel_cudaERNS_18TensorIteratorBaseEENKUlvE_clEvENKUlvE_clEvEUldE_St5arrayIPcLm2EEEEviT0_T1_
    .private_segment_fixed_size: 0
    .sgpr_count:     39
    .sgpr_spill_count: 0
    .symbol:         _ZN2at6native29vectorized_elementwise_kernelILi16EZZZNS0_12_GLOBAL__N_130modified_bessel_i0_kernel_cudaERNS_18TensorIteratorBaseEENKUlvE_clEvENKUlvE_clEvEUldE_St5arrayIPcLm2EEEEviT0_T1_.kd
    .uniform_work_group_size: 1
    .uses_dynamic_stack: false
    .vgpr_count:     32
    .vgpr_spill_count: 0
    .wavefront_size: 64
  - .agpr_count:     0
    .args:
      - .offset:         0
        .size:           4
        .value_kind:     by_value
      - .offset:         4
        .size:           1
        .value_kind:     by_value
      - .offset:         8
        .size:           16
        .value_kind:     by_value
    .group_segment_fixed_size: 0
    .kernarg_segment_align: 8
    .kernarg_segment_size: 24
    .language:       OpenCL C
    .language_version:
      - 2
      - 0
    .max_flat_workgroup_size: 256
    .name:           _ZN2at6native29vectorized_elementwise_kernelILi8EZZZNS0_12_GLOBAL__N_130modified_bessel_i0_kernel_cudaERNS_18TensorIteratorBaseEENKUlvE_clEvENKUlvE_clEvEUldE_St5arrayIPcLm2EEEEviT0_T1_
    .private_segment_fixed_size: 0
    .sgpr_count:     39
    .sgpr_spill_count: 0
    .symbol:         _ZN2at6native29vectorized_elementwise_kernelILi8EZZZNS0_12_GLOBAL__N_130modified_bessel_i0_kernel_cudaERNS_18TensorIteratorBaseEENKUlvE_clEvENKUlvE_clEvEUldE_St5arrayIPcLm2EEEEviT0_T1_.kd
    .uniform_work_group_size: 1
    .uses_dynamic_stack: false
    .vgpr_count:     32
    .vgpr_spill_count: 0
    .wavefront_size: 64
  - .agpr_count:     0
    .args:
      - .offset:         0
        .size:           4
        .value_kind:     by_value
      - .offset:         4
        .size:           1
        .value_kind:     by_value
      - .offset:         8
        .size:           16
        .value_kind:     by_value
    .group_segment_fixed_size: 0
    .kernarg_segment_align: 8
    .kernarg_segment_size: 24
    .language:       OpenCL C
    .language_version:
      - 2
      - 0
    .max_flat_workgroup_size: 256
    .name:           _ZN2at6native29vectorized_elementwise_kernelILi4EZZZNS0_12_GLOBAL__N_130modified_bessel_i0_kernel_cudaERNS_18TensorIteratorBaseEENKUlvE_clEvENKUlvE_clEvEUldE_St5arrayIPcLm2EEEEviT0_T1_
    .private_segment_fixed_size: 0
    .sgpr_count:     39
    .sgpr_spill_count: 0
    .symbol:         _ZN2at6native29vectorized_elementwise_kernelILi4EZZZNS0_12_GLOBAL__N_130modified_bessel_i0_kernel_cudaERNS_18TensorIteratorBaseEENKUlvE_clEvENKUlvE_clEvEUldE_St5arrayIPcLm2EEEEviT0_T1_.kd
    .uniform_work_group_size: 1
    .uses_dynamic_stack: false
    .vgpr_count:     32
    .vgpr_spill_count: 0
    .wavefront_size: 64
  - .agpr_count:     0
    .args:
      - .offset:         0
        .size:           4
        .value_kind:     by_value
      - .offset:         4
        .size:           1
        .value_kind:     by_value
      - .offset:         8
        .size:           16
        .value_kind:     by_value
    .group_segment_fixed_size: 0
    .kernarg_segment_align: 8
    .kernarg_segment_size: 24
    .language:       OpenCL C
    .language_version:
      - 2
      - 0
    .max_flat_workgroup_size: 256
    .name:           _ZN2at6native29vectorized_elementwise_kernelILi2EZZZNS0_12_GLOBAL__N_130modified_bessel_i0_kernel_cudaERNS_18TensorIteratorBaseEENKUlvE_clEvENKUlvE_clEvEUldE_St5arrayIPcLm2EEEEviT0_T1_
    .private_segment_fixed_size: 0
    .sgpr_count:     39
    .sgpr_spill_count: 0
    .symbol:         _ZN2at6native29vectorized_elementwise_kernelILi2EZZZNS0_12_GLOBAL__N_130modified_bessel_i0_kernel_cudaERNS_18TensorIteratorBaseEENKUlvE_clEvENKUlvE_clEvEUldE_St5arrayIPcLm2EEEEviT0_T1_.kd
    .uniform_work_group_size: 1
    .uses_dynamic_stack: false
    .vgpr_count:     32
    .vgpr_spill_count: 0
    .wavefront_size: 64
  - .agpr_count:     0
    .args:
      - .offset:         0
        .size:           4
        .value_kind:     by_value
      - .offset:         4
        .size:           1
        .value_kind:     by_value
      - .offset:         8
        .size:           16
        .value_kind:     by_value
      - .offset:         24
        .size:           1
        .value_kind:     by_value
      - .offset:         25
        .size:           1
        .value_kind:     by_value
      - .offset:         26
        .size:           1
        .value_kind:     by_value
      - .offset:         27
        .size:           1
        .value_kind:     by_value
    .group_segment_fixed_size: 0
    .kernarg_segment_align: 8
    .kernarg_segment_size: 28
    .language:       OpenCL C
    .language_version:
      - 2
      - 0
    .max_flat_workgroup_size: 256
    .name:           _ZN2at6native27unrolled_elementwise_kernelIZZZNS0_12_GLOBAL__N_130modified_bessel_i0_kernel_cudaERNS_18TensorIteratorBaseEENKUlvE_clEvENKUlvE_clEvEUldE_St5arrayIPcLm2EELi4E23TrivialOffsetCalculatorILi1EjESC_NS0_6memory15LoadWithoutCastENSD_16StoreWithoutCastEEEviT_T0_T2_T3_T4_T5_
    .private_segment_fixed_size: 0
    .sgpr_count:     39
    .sgpr_spill_count: 0
    .symbol:         _ZN2at6native27unrolled_elementwise_kernelIZZZNS0_12_GLOBAL__N_130modified_bessel_i0_kernel_cudaERNS_18TensorIteratorBaseEENKUlvE_clEvENKUlvE_clEvEUldE_St5arrayIPcLm2EELi4E23TrivialOffsetCalculatorILi1EjESC_NS0_6memory15LoadWithoutCastENSD_16StoreWithoutCastEEEviT_T0_T2_T3_T4_T5_.kd
    .uniform_work_group_size: 1
    .uses_dynamic_stack: false
    .vgpr_count:     32
    .vgpr_spill_count: 0
    .wavefront_size: 64
  - .agpr_count:     0
    .args:
      - .offset:         0
        .size:           4
        .value_kind:     by_value
      - .offset:         8
        .size:           352
        .value_kind:     by_value
    .group_segment_fixed_size: 0
    .kernarg_segment_align: 8
    .kernarg_segment_size: 360
    .language:       OpenCL C
    .language_version:
      - 2
      - 0
    .max_flat_workgroup_size: 128
    .name:           _ZN2at6native32elementwise_kernel_manual_unrollILi128ELi4EZNS0_22gpu_kernel_impl_nocastIZZZNS0_12_GLOBAL__N_130modified_bessel_i0_kernel_cudaERNS_18TensorIteratorBaseEENKUlvE_clEvENKUlvE_clEvEUldE_EEvS5_RKT_EUlibE_EEviT1_
    .private_segment_fixed_size: 0
    .sgpr_count:     64
    .sgpr_spill_count: 0
    .symbol:         _ZN2at6native32elementwise_kernel_manual_unrollILi128ELi4EZNS0_22gpu_kernel_impl_nocastIZZZNS0_12_GLOBAL__N_130modified_bessel_i0_kernel_cudaERNS_18TensorIteratorBaseEENKUlvE_clEvENKUlvE_clEvEUldE_EEvS5_RKT_EUlibE_EEviT1_.kd
    .uniform_work_group_size: 1
    .uses_dynamic_stack: false
    .vgpr_count:     28
    .vgpr_spill_count: 0
    .wavefront_size: 64
  - .agpr_count:     0
    .args:
      - .offset:         0
        .size:           4
        .value_kind:     by_value
      - .offset:         8
        .size:           32
        .value_kind:     by_value
    .group_segment_fixed_size: 0
    .kernarg_segment_align: 8
    .kernarg_segment_size: 40
    .language:       OpenCL C
    .language_version:
      - 2
      - 0
    .max_flat_workgroup_size: 128
    .name:           _ZN2at6native32elementwise_kernel_manual_unrollILi128ELi4EZNS0_15gpu_kernel_implIZZZNS0_12_GLOBAL__N_130modified_bessel_i0_kernel_cudaERNS_18TensorIteratorBaseEENKUlvE_clEvENKUlvE_clEvEUldE_EEvS5_RKT_EUlibE_EEviT1_
    .private_segment_fixed_size: 0
    .sgpr_count:     48
    .sgpr_spill_count: 0
    .symbol:         _ZN2at6native32elementwise_kernel_manual_unrollILi128ELi4EZNS0_15gpu_kernel_implIZZZNS0_12_GLOBAL__N_130modified_bessel_i0_kernel_cudaERNS_18TensorIteratorBaseEENKUlvE_clEvENKUlvE_clEvEUldE_EEvS5_RKT_EUlibE_EEviT1_.kd
    .uniform_work_group_size: 1
    .uses_dynamic_stack: false
    .vgpr_count:     24
    .vgpr_spill_count: 0
    .wavefront_size: 64
  - .agpr_count:     0
    .args:
      - .offset:         0
        .size:           4
        .value_kind:     by_value
      - .offset:         8
        .size:           352
        .value_kind:     by_value
    .group_segment_fixed_size: 0
    .kernarg_segment_align: 8
    .kernarg_segment_size: 360
    .language:       OpenCL C
    .language_version:
      - 2
      - 0
    .max_flat_workgroup_size: 128
    .name:           _ZN2at6native32elementwise_kernel_manual_unrollILi128ELi4EZNS0_15gpu_kernel_implIZZZNS0_12_GLOBAL__N_130modified_bessel_i0_kernel_cudaERNS_18TensorIteratorBaseEENKUlvE_clEvENKUlvE_clEvEUldE_EEvS5_RKT_EUlibE0_EEviT1_
    .private_segment_fixed_size: 0
    .sgpr_count:     80
    .sgpr_spill_count: 0
    .symbol:         _ZN2at6native32elementwise_kernel_manual_unrollILi128ELi4EZNS0_15gpu_kernel_implIZZZNS0_12_GLOBAL__N_130modified_bessel_i0_kernel_cudaERNS_18TensorIteratorBaseEENKUlvE_clEvENKUlvE_clEvEUldE_EEvS5_RKT_EUlibE0_EEviT1_.kd
    .uniform_work_group_size: 1
    .uses_dynamic_stack: false
    .vgpr_count:     28
    .vgpr_spill_count: 0
    .wavefront_size: 64
  - .agpr_count:     0
    .args:
      - .offset:         0
        .size:           4
        .value_kind:     by_value
      - .offset:         4
        .size:           1
        .value_kind:     by_value
      - .offset:         8
        .size:           16
        .value_kind:     by_value
    .group_segment_fixed_size: 0
    .kernarg_segment_align: 8
    .kernarg_segment_size: 24
    .language:       OpenCL C
    .language_version:
      - 2
      - 0
    .max_flat_workgroup_size: 256
    .name:           _ZN2at6native29vectorized_elementwise_kernelILi16EZZZNS0_12_GLOBAL__N_130modified_bessel_i0_kernel_cudaERNS_18TensorIteratorBaseEENKUlvE_clEvENKUlvE0_clEvEUlfE_St5arrayIPcLm2EEEEviT0_T1_
    .private_segment_fixed_size: 0
    .sgpr_count:     39
    .sgpr_spill_count: 0
    .symbol:         _ZN2at6native29vectorized_elementwise_kernelILi16EZZZNS0_12_GLOBAL__N_130modified_bessel_i0_kernel_cudaERNS_18TensorIteratorBaseEENKUlvE_clEvENKUlvE0_clEvEUlfE_St5arrayIPcLm2EEEEviT0_T1_.kd
    .uniform_work_group_size: 1
    .uses_dynamic_stack: false
    .vgpr_count:     32
    .vgpr_spill_count: 0
    .wavefront_size: 64
  - .agpr_count:     0
    .args:
      - .offset:         0
        .size:           4
        .value_kind:     by_value
      - .offset:         4
        .size:           1
        .value_kind:     by_value
      - .offset:         8
        .size:           16
        .value_kind:     by_value
    .group_segment_fixed_size: 0
    .kernarg_segment_align: 8
    .kernarg_segment_size: 24
    .language:       OpenCL C
    .language_version:
      - 2
      - 0
    .max_flat_workgroup_size: 256
    .name:           _ZN2at6native29vectorized_elementwise_kernelILi8EZZZNS0_12_GLOBAL__N_130modified_bessel_i0_kernel_cudaERNS_18TensorIteratorBaseEENKUlvE_clEvENKUlvE0_clEvEUlfE_St5arrayIPcLm2EEEEviT0_T1_
    .private_segment_fixed_size: 0
    .sgpr_count:     39
    .sgpr_spill_count: 0
    .symbol:         _ZN2at6native29vectorized_elementwise_kernelILi8EZZZNS0_12_GLOBAL__N_130modified_bessel_i0_kernel_cudaERNS_18TensorIteratorBaseEENKUlvE_clEvENKUlvE0_clEvEUlfE_St5arrayIPcLm2EEEEviT0_T1_.kd
    .uniform_work_group_size: 1
    .uses_dynamic_stack: false
    .vgpr_count:     32
    .vgpr_spill_count: 0
    .wavefront_size: 64
  - .agpr_count:     0
    .args:
      - .offset:         0
        .size:           4
        .value_kind:     by_value
      - .offset:         4
        .size:           1
        .value_kind:     by_value
      - .offset:         8
        .size:           16
        .value_kind:     by_value
    .group_segment_fixed_size: 0
    .kernarg_segment_align: 8
    .kernarg_segment_size: 24
    .language:       OpenCL C
    .language_version:
      - 2
      - 0
    .max_flat_workgroup_size: 256
    .name:           _ZN2at6native29vectorized_elementwise_kernelILi4EZZZNS0_12_GLOBAL__N_130modified_bessel_i0_kernel_cudaERNS_18TensorIteratorBaseEENKUlvE_clEvENKUlvE0_clEvEUlfE_St5arrayIPcLm2EEEEviT0_T1_
    .private_segment_fixed_size: 0
    .sgpr_count:     39
    .sgpr_spill_count: 0
    .symbol:         _ZN2at6native29vectorized_elementwise_kernelILi4EZZZNS0_12_GLOBAL__N_130modified_bessel_i0_kernel_cudaERNS_18TensorIteratorBaseEENKUlvE_clEvENKUlvE0_clEvEUlfE_St5arrayIPcLm2EEEEviT0_T1_.kd
    .uniform_work_group_size: 1
    .uses_dynamic_stack: false
    .vgpr_count:     32
    .vgpr_spill_count: 0
    .wavefront_size: 64
  - .agpr_count:     0
    .args:
      - .offset:         0
        .size:           4
        .value_kind:     by_value
      - .offset:         4
        .size:           1
        .value_kind:     by_value
      - .offset:         8
        .size:           16
        .value_kind:     by_value
    .group_segment_fixed_size: 0
    .kernarg_segment_align: 8
    .kernarg_segment_size: 24
    .language:       OpenCL C
    .language_version:
      - 2
      - 0
    .max_flat_workgroup_size: 256
    .name:           _ZN2at6native29vectorized_elementwise_kernelILi2EZZZNS0_12_GLOBAL__N_130modified_bessel_i0_kernel_cudaERNS_18TensorIteratorBaseEENKUlvE_clEvENKUlvE0_clEvEUlfE_St5arrayIPcLm2EEEEviT0_T1_
    .private_segment_fixed_size: 0
    .sgpr_count:     39
    .sgpr_spill_count: 0
    .symbol:         _ZN2at6native29vectorized_elementwise_kernelILi2EZZZNS0_12_GLOBAL__N_130modified_bessel_i0_kernel_cudaERNS_18TensorIteratorBaseEENKUlvE_clEvENKUlvE0_clEvEUlfE_St5arrayIPcLm2EEEEviT0_T1_.kd
    .uniform_work_group_size: 1
    .uses_dynamic_stack: false
    .vgpr_count:     32
    .vgpr_spill_count: 0
    .wavefront_size: 64
  - .agpr_count:     0
    .args:
      - .offset:         0
        .size:           4
        .value_kind:     by_value
      - .offset:         4
        .size:           1
        .value_kind:     by_value
      - .offset:         8
        .size:           16
        .value_kind:     by_value
      - .offset:         24
        .size:           1
        .value_kind:     by_value
      - .offset:         25
        .size:           1
        .value_kind:     by_value
      - .offset:         26
        .size:           1
        .value_kind:     by_value
      - .offset:         27
        .size:           1
        .value_kind:     by_value
    .group_segment_fixed_size: 0
    .kernarg_segment_align: 8
    .kernarg_segment_size: 28
    .language:       OpenCL C
    .language_version:
      - 2
      - 0
    .max_flat_workgroup_size: 256
    .name:           _ZN2at6native27unrolled_elementwise_kernelIZZZNS0_12_GLOBAL__N_130modified_bessel_i0_kernel_cudaERNS_18TensorIteratorBaseEENKUlvE_clEvENKUlvE0_clEvEUlfE_St5arrayIPcLm2EELi4E23TrivialOffsetCalculatorILi1EjESC_NS0_6memory15LoadWithoutCastENSD_16StoreWithoutCastEEEviT_T0_T2_T3_T4_T5_
    .private_segment_fixed_size: 0
    .sgpr_count:     39
    .sgpr_spill_count: 0
    .symbol:         _ZN2at6native27unrolled_elementwise_kernelIZZZNS0_12_GLOBAL__N_130modified_bessel_i0_kernel_cudaERNS_18TensorIteratorBaseEENKUlvE_clEvENKUlvE0_clEvEUlfE_St5arrayIPcLm2EELi4E23TrivialOffsetCalculatorILi1EjESC_NS0_6memory15LoadWithoutCastENSD_16StoreWithoutCastEEEviT_T0_T2_T3_T4_T5_.kd
    .uniform_work_group_size: 1
    .uses_dynamic_stack: false
    .vgpr_count:     32
    .vgpr_spill_count: 0
    .wavefront_size: 64
  - .agpr_count:     0
    .args:
      - .offset:         0
        .size:           4
        .value_kind:     by_value
      - .offset:         8
        .size:           352
        .value_kind:     by_value
    .group_segment_fixed_size: 0
    .kernarg_segment_align: 8
    .kernarg_segment_size: 360
    .language:       OpenCL C
    .language_version:
      - 2
      - 0
    .max_flat_workgroup_size: 128
    .name:           _ZN2at6native32elementwise_kernel_manual_unrollILi128ELi4EZNS0_22gpu_kernel_impl_nocastIZZZNS0_12_GLOBAL__N_130modified_bessel_i0_kernel_cudaERNS_18TensorIteratorBaseEENKUlvE_clEvENKUlvE0_clEvEUlfE_EEvS5_RKT_EUlibE_EEviT1_
    .private_segment_fixed_size: 0
    .sgpr_count:     64
    .sgpr_spill_count: 0
    .symbol:         _ZN2at6native32elementwise_kernel_manual_unrollILi128ELi4EZNS0_22gpu_kernel_impl_nocastIZZZNS0_12_GLOBAL__N_130modified_bessel_i0_kernel_cudaERNS_18TensorIteratorBaseEENKUlvE_clEvENKUlvE0_clEvEUlfE_EEvS5_RKT_EUlibE_EEviT1_.kd
    .uniform_work_group_size: 1
    .uses_dynamic_stack: false
    .vgpr_count:     18
    .vgpr_spill_count: 0
    .wavefront_size: 64
  - .agpr_count:     0
    .args:
      - .offset:         0
        .size:           4
        .value_kind:     by_value
      - .offset:         8
        .size:           32
        .value_kind:     by_value
    .group_segment_fixed_size: 0
    .kernarg_segment_align: 8
    .kernarg_segment_size: 40
    .language:       OpenCL C
    .language_version:
      - 2
      - 0
    .max_flat_workgroup_size: 128
    .name:           _ZN2at6native32elementwise_kernel_manual_unrollILi128ELi4EZNS0_15gpu_kernel_implIZZZNS0_12_GLOBAL__N_130modified_bessel_i0_kernel_cudaERNS_18TensorIteratorBaseEENKUlvE_clEvENKUlvE0_clEvEUlfE_EEvS5_RKT_EUlibE_EEviT1_
    .private_segment_fixed_size: 0
    .sgpr_count:     46
    .sgpr_spill_count: 0
    .symbol:         _ZN2at6native32elementwise_kernel_manual_unrollILi128ELi4EZNS0_15gpu_kernel_implIZZZNS0_12_GLOBAL__N_130modified_bessel_i0_kernel_cudaERNS_18TensorIteratorBaseEENKUlvE_clEvENKUlvE0_clEvEUlfE_EEvS5_RKT_EUlibE_EEviT1_.kd
    .uniform_work_group_size: 1
    .uses_dynamic_stack: false
    .vgpr_count:     16
    .vgpr_spill_count: 0
    .wavefront_size: 64
  - .agpr_count:     0
    .args:
      - .offset:         0
        .size:           4
        .value_kind:     by_value
      - .offset:         8
        .size:           352
        .value_kind:     by_value
    .group_segment_fixed_size: 0
    .kernarg_segment_align: 8
    .kernarg_segment_size: 360
    .language:       OpenCL C
    .language_version:
      - 2
      - 0
    .max_flat_workgroup_size: 128
    .name:           _ZN2at6native32elementwise_kernel_manual_unrollILi128ELi4EZNS0_15gpu_kernel_implIZZZNS0_12_GLOBAL__N_130modified_bessel_i0_kernel_cudaERNS_18TensorIteratorBaseEENKUlvE_clEvENKUlvE0_clEvEUlfE_EEvS5_RKT_EUlibE0_EEviT1_
    .private_segment_fixed_size: 0
    .sgpr_count:     80
    .sgpr_spill_count: 0
    .symbol:         _ZN2at6native32elementwise_kernel_manual_unrollILi128ELi4EZNS0_15gpu_kernel_implIZZZNS0_12_GLOBAL__N_130modified_bessel_i0_kernel_cudaERNS_18TensorIteratorBaseEENKUlvE_clEvENKUlvE0_clEvEUlfE_EEvS5_RKT_EUlibE0_EEviT1_.kd
    .uniform_work_group_size: 1
    .uses_dynamic_stack: false
    .vgpr_count:     20
    .vgpr_spill_count: 0
    .wavefront_size: 64
amdhsa.target:   amdgcn-amd-amdhsa--gfx90a
amdhsa.version:
  - 1
  - 2
...

	.end_amdgpu_metadata
